;; amdgpu-corpus repo=ROCm/rocFFT kind=compiled arch=gfx1201 opt=O3
	.text
	.amdgcn_target "amdgcn-amd-amdhsa--gfx1201"
	.amdhsa_code_object_version 6
	.protected	bluestein_single_back_len1428_dim1_sp_op_CI_CI ; -- Begin function bluestein_single_back_len1428_dim1_sp_op_CI_CI
	.globl	bluestein_single_back_len1428_dim1_sp_op_CI_CI
	.p2align	8
	.type	bluestein_single_back_len1428_dim1_sp_op_CI_CI,@function
bluestein_single_back_len1428_dim1_sp_op_CI_CI: ; @bluestein_single_back_len1428_dim1_sp_op_CI_CI
; %bb.0:
	s_load_b128 s[8:11], s[0:1], 0x28
	v_mul_u32_u24_e32 v1, 0x227, v0
	s_mov_b32 s2, exec_lo
	v_mov_b32_e32 v73, 0
	s_delay_alu instid0(VALU_DEP_2) | instskip(NEXT) | instid1(VALU_DEP_1)
	v_lshrrev_b32_e32 v1, 16, v1
	v_add_nc_u32_e32 v72, ttmp9, v1
	s_wait_kmcnt 0x0
	s_delay_alu instid0(VALU_DEP_1)
	v_cmpx_gt_u64_e64 s[8:9], v[72:73]
	s_cbranch_execz .LBB0_23
; %bb.1:
	s_clause 0x1
	s_load_b64 s[8:9], s[0:1], 0x0
	s_load_b64 s[12:13], s[0:1], 0x38
	v_mul_lo_u16 v1, 0x77, v1
	s_delay_alu instid0(VALU_DEP_1) | instskip(NEXT) | instid1(VALU_DEP_1)
	v_sub_nc_u16 v0, v0, v1
	v_and_b32_e32 v96, 0xffff, v0
	v_cmp_gt_u16_e32 vcc_lo, 0x54, v0
	s_delay_alu instid0(VALU_DEP_2)
	v_lshlrev_b32_e32 v95, 3, v96
	s_and_saveexec_b32 s3, vcc_lo
	s_cbranch_execz .LBB0_3
; %bb.2:
	s_load_b64 s[4:5], s[0:1], 0x18
	s_delay_alu instid0(VALU_DEP_1)
	v_add_nc_u32_e32 v70, 0x800, v95
	v_add_nc_u32_e32 v74, 0x1800, v95
	;; [unrolled: 1-line block ×3, first 2 shown]
	s_wait_kmcnt 0x0
	s_load_b128 s[4:7], s[4:5], 0x0
	s_wait_kmcnt 0x0
	v_mad_co_u64_u32 v[0:1], null, s6, v72, 0
	v_mad_co_u64_u32 v[2:3], null, s4, v96, 0
	s_delay_alu instid0(VALU_DEP_1) | instskip(NEXT) | instid1(VALU_DEP_1)
	v_mad_co_u64_u32 v[4:5], null, s7, v72, v[1:2]
	v_mad_co_u64_u32 v[5:6], null, s5, v96, v[3:4]
	v_mov_b32_e32 v1, v4
	s_mul_u64 s[4:5], s[4:5], 0x2a0
	s_delay_alu instid0(VALU_DEP_1) | instskip(NEXT) | instid1(VALU_DEP_3)
	v_lshlrev_b64_e32 v[0:1], 3, v[0:1]
	v_mov_b32_e32 v3, v5
	s_delay_alu instid0(VALU_DEP_1) | instskip(NEXT) | instid1(VALU_DEP_3)
	v_lshlrev_b64_e32 v[2:3], 3, v[2:3]
	v_add_co_u32 v10, s2, s10, v0
	s_delay_alu instid0(VALU_DEP_1)
	v_add_co_ci_u32_e64 v11, s2, s11, v1, s2
	s_clause 0x3
	global_load_b64 v[0:1], v95, s[8:9]
	global_load_b64 v[4:5], v95, s[8:9] offset:672
	global_load_b64 v[6:7], v95, s[8:9] offset:1344
	;; [unrolled: 1-line block ×3, first 2 shown]
	v_add_co_u32 v2, s2, v10, v2
	s_wait_alu 0xf1ff
	v_add_co_ci_u32_e64 v3, s2, v11, v3, s2
	s_clause 0x3
	global_load_b64 v[12:13], v95, s[8:9] offset:2688
	global_load_b64 v[14:15], v95, s[8:9] offset:3360
	;; [unrolled: 1-line block ×4, first 2 shown]
	s_wait_alu 0xfffe
	v_add_co_u32 v10, s2, v2, s4
	s_wait_alu 0xf1ff
	v_add_co_ci_u32_e64 v11, s2, s5, v3, s2
	s_clause 0x3
	global_load_b64 v[22:23], v95, s[8:9] offset:5376
	global_load_b64 v[24:25], v95, s[8:9] offset:6048
	;; [unrolled: 1-line block ×4, first 2 shown]
	v_add_co_u32 v20, s2, v10, s4
	s_wait_alu 0xf1ff
	v_add_co_ci_u32_e64 v21, s2, s5, v11, s2
	s_clause 0x2
	global_load_b64 v[32:33], v95, s[8:9] offset:8064
	global_load_b64 v[34:35], v95, s[8:9] offset:8736
	;; [unrolled: 1-line block ×3, first 2 shown]
	v_add_co_u32 v30, s2, v20, s4
	s_wait_alu 0xf1ff
	v_add_co_ci_u32_e64 v31, s2, s5, v21, s2
	s_delay_alu instid0(VALU_DEP_2) | instskip(SKIP_1) | instid1(VALU_DEP_2)
	v_add_co_u32 v38, s2, v30, s4
	s_wait_alu 0xf1ff
	v_add_co_ci_u32_e64 v39, s2, s5, v31, s2
	s_clause 0x3
	global_load_b64 v[2:3], v[2:3], off
	global_load_b64 v[10:11], v[10:11], off
	global_load_b64 v[20:21], v[20:21], off
	global_load_b64 v[30:31], v[30:31], off
	v_add_co_u32 v40, s2, v38, s4
	s_wait_alu 0xf1ff
	v_add_co_ci_u32_e64 v41, s2, s5, v39, s2
	global_load_b64 v[38:39], v[38:39], off
	v_add_co_u32 v42, s2, v40, s4
	s_wait_alu 0xf1ff
	v_add_co_ci_u32_e64 v43, s2, s5, v41, s2
	global_load_b64 v[40:41], v[40:41], off
	;; [unrolled: 4-line block ×11, first 2 shown]
	v_add_co_u32 v62, s2, v60, s4
	s_wait_alu 0xf1ff
	v_add_co_ci_u32_e64 v63, s2, s5, v61, s2
	global_load_b64 v[64:65], v95, s[8:9] offset:10080
	global_load_b64 v[60:61], v[60:61], off
	global_load_b64 v[66:67], v95, s[8:9] offset:10752
	global_load_b64 v[62:63], v[62:63], off
	v_add_nc_u32_e32 v71, 0xc00, v95
	s_wait_loadcnt 0x12
	v_dual_mul_f32 v68, v3, v1 :: v_dual_add_nc_u32 v75, 0x1c00, v95
	v_mul_f32_e32 v69, v2, v1
	v_add_nc_u32_e32 v73, 0x1000, v95
	s_wait_loadcnt 0x11
	s_delay_alu instid0(VALU_DEP_3) | instskip(NEXT) | instid1(VALU_DEP_3)
	v_dual_mul_f32 v1, v11, v5 :: v_dual_fmac_f32 v68, v2, v0
	v_fma_f32 v69, v3, v0, -v69
	v_mul_f32_e32 v0, v10, v5
	s_delay_alu instid0(VALU_DEP_3) | instskip(NEXT) | instid1(VALU_DEP_2)
	v_fmac_f32_e32 v1, v10, v4
	v_fma_f32 v2, v11, v4, -v0
	s_wait_loadcnt 0xe
	v_dual_mul_f32 v0, v39, v13 :: v_dual_mul_f32 v3, v21, v7
	v_mul_f32_e32 v7, v20, v7
	ds_store_2addr_b64 v95, v[68:69], v[1:2] offset1:84
	s_wait_loadcnt 0xd
	v_dual_mul_f32 v2, v41, v15 :: v_dual_mul_f32 v5, v31, v9
	v_mul_f32_e32 v9, v30, v9
	v_fma_f32 v4, v21, v6, -v7
	v_dual_fmac_f32 v0, v38, v12 :: v_dual_fmac_f32 v3, v20, v6
	s_delay_alu instid0(VALU_DEP_4) | instskip(NEXT) | instid1(VALU_DEP_4)
	v_dual_fmac_f32 v2, v40, v14 :: v_dual_fmac_f32 v5, v30, v8
	v_fma_f32 v6, v31, v8, -v9
	s_wait_loadcnt 0xa
	v_dual_mul_f32 v7, v38, v13 :: v_dual_mul_f32 v8, v47, v23
	v_mul_f32_e32 v9, v46, v23
	ds_store_2addr_b64 v95, v[3:4], v[5:6] offset0:168 offset1:252
	v_mul_f32_e32 v3, v40, v15
	v_fma_f32 v1, v39, v12, -v7
	v_mul_f32_e32 v4, v43, v17
	v_mul_f32_e32 v6, v45, v19
	v_dual_mul_f32 v7, v44, v19 :: v_dual_fmac_f32 v8, v46, v22
	v_fma_f32 v3, v41, v14, -v3
	s_delay_alu instid0(VALU_DEP_4) | instskip(NEXT) | instid1(VALU_DEP_4)
	v_fmac_f32_e32 v4, v42, v16
	v_fmac_f32_e32 v6, v44, v18
	s_delay_alu instid0(VALU_DEP_4)
	v_fma_f32 v7, v45, v18, -v7
	ds_store_2addr_b64 v70, v[0:1], v[2:3] offset0:80 offset1:164
	s_wait_loadcnt 0x9
	v_mul_f32_e32 v0, v49, v25
	v_mul_f32_e32 v5, v42, v17
	s_wait_loadcnt 0x8
	v_dual_mul_f32 v1, v48, v25 :: v_dual_mul_f32 v2, v51, v27
	s_delay_alu instid0(VALU_DEP_3) | instskip(NEXT) | instid1(VALU_DEP_3)
	v_fmac_f32_e32 v0, v48, v24
	v_fma_f32 v5, v43, v16, -v5
	s_delay_alu instid0(VALU_DEP_3) | instskip(NEXT) | instid1(VALU_DEP_4)
	v_fma_f32 v1, v49, v24, -v1
	v_fmac_f32_e32 v2, v50, v26
	s_wait_loadcnt 0x5
	v_mul_f32_e32 v10, v57, v35
	v_mul_f32_e32 v11, v56, v35
	ds_store_2addr_b64 v71, v[4:5], v[6:7] offset0:120 offset1:204
	v_mul_f32_e32 v6, v55, v33
	v_mul_f32_e32 v7, v54, v33
	v_dual_mul_f32 v4, v53, v29 :: v_dual_mul_f32 v3, v50, v27
	s_delay_alu instid0(VALU_DEP_3)
	v_dual_mul_f32 v5, v52, v29 :: v_dual_fmac_f32 v6, v54, v32
	s_wait_loadcnt 0x2
	v_mul_f32_e32 v15, v60, v65
	s_wait_loadcnt 0x0
	v_dual_mul_f32 v12, v59, v37 :: v_dual_mul_f32 v17, v62, v67
	v_dual_fmac_f32 v10, v56, v34 :: v_dual_mul_f32 v13, v58, v37
	v_mul_f32_e32 v14, v61, v65
	v_mul_f32_e32 v16, v63, v67
	v_fma_f32 v9, v47, v22, -v9
	v_fmac_f32_e32 v4, v52, v28
	v_fma_f32 v3, v51, v26, -v3
	v_fma_f32 v5, v53, v28, -v5
	;; [unrolled: 1-line block ×4, first 2 shown]
	v_fmac_f32_e32 v12, v58, v36
	v_fma_f32 v13, v59, v36, -v13
	v_fmac_f32_e32 v14, v60, v64
	v_fma_f32 v15, v61, v64, -v15
	;; [unrolled: 2-line block ×3, first 2 shown]
	ds_store_2addr_b64 v73, v[8:9], v[0:1] offset0:160 offset1:244
	ds_store_2addr_b64 v74, v[2:3], v[4:5] offset0:72 offset1:156
	;; [unrolled: 1-line block ×4, first 2 shown]
	ds_store_b64 v95, v[16:17] offset:10752
.LBB0_3:
	s_or_b32 exec_lo, exec_lo, s3
	s_clause 0x1
	s_load_b64 s[4:5], s[0:1], 0x20
	s_load_b64 s[2:3], s[0:1], 0x8
	v_mov_b32_e32 v4, 0
	v_mov_b32_e32 v5, 0
	global_wb scope:SCOPE_SE
	s_wait_dscnt 0x0
	s_wait_kmcnt 0x0
	s_barrier_signal -1
	s_barrier_wait -1
	global_inv scope:SCOPE_SE
                                        ; implicit-def: $vgpr12
                                        ; implicit-def: $vgpr8
                                        ; implicit-def: $vgpr36
                                        ; implicit-def: $vgpr18
                                        ; implicit-def: $vgpr26
                                        ; implicit-def: $vgpr34
                                        ; implicit-def: $vgpr30
                                        ; implicit-def: $vgpr22
	s_and_saveexec_b32 s0, vcc_lo
	s_cbranch_execz .LBB0_5
; %bb.4:
	v_add_nc_u32_e32 v0, 0x800, v95
	v_add_nc_u32_e32 v1, 0xc00, v95
	;; [unrolled: 1-line block ×3, first 2 shown]
	ds_load_2addr_b64 v[4:7], v95 offset1:84
	ds_load_2addr_b64 v[20:23], v95 offset0:168 offset1:252
	v_add_nc_u32_e32 v3, 0x1c00, v95
	ds_load_2addr_b64 v[28:31], v0 offset0:80 offset1:164
	v_add_nc_u32_e32 v0, 0x1800, v95
	v_add_nc_u32_e32 v8, 0x2000, v95
	ds_load_2addr_b64 v[32:35], v1 offset0:120 offset1:204
	ds_load_2addr_b64 v[24:27], v2 offset0:160 offset1:244
	;; [unrolled: 1-line block ×5, first 2 shown]
	ds_load_b64 v[36:37], v95 offset:10752
.LBB0_5:
	s_wait_alu 0xfffe
	s_or_b32 exec_lo, exec_lo, s0
	s_wait_dscnt 0x0
	v_dual_sub_f32 v40, v7, v37 :: v_dual_add_f32 v85, v37, v7
	v_sub_f32_e32 v90, v6, v36
	v_sub_f32_e32 v98, v20, v10
	v_add_f32_e32 v88, v10, v20
	s_delay_alu instid0(VALU_DEP_4) | instskip(NEXT) | instid1(VALU_DEP_4)
	v_mul_f32_e32 v44, 0xbeb8f4ab, v40
	v_dual_sub_f32 v42, v21, v11 :: v_dual_mul_f32 v45, 0xbeb8f4ab, v90
	v_dual_sub_f32 v144, v31, v13 :: v_dual_add_f32 v103, v12, v30
	v_sub_f32_e32 v117, v32, v18
	v_dual_add_f32 v111, v17, v35 :: v_dual_sub_f32 v122, v24, v26
	s_delay_alu instid0(VALU_DEP_4) | instskip(NEXT) | instid1(VALU_DEP_4)
	v_fma_f32 v1, 0x3f6eb680, v85, -v45
	v_dual_mul_f32 v92, 0x3f2c7751, v144 :: v_dual_sub_f32 v145, v25, v27
	v_mul_f32_e32 v129, 0xbf7ee86f, v40
	s_delay_alu instid0(VALU_DEP_3) | instskip(SKIP_1) | instid1(VALU_DEP_4)
	v_dual_mul_f32 v80, 0xbe3c28d5, v122 :: v_dual_add_f32 v1, v1, v5
	v_dual_mul_f32 v54, 0xbf2c7751, v40 :: v_dual_mul_f32 v57, 0xbf2c7751, v90
	v_mul_f32_e32 v109, 0xbf06c442, v145
	v_mul_f32_e32 v133, 0xbf7ee86f, v90
	;; [unrolled: 1-line block ×4, first 2 shown]
	v_fma_f32 v3, 0x3f3d2fb0, v85, -v57
	v_dual_add_f32 v82, v36, v6 :: v_dual_add_f32 v89, v11, v21
	v_mul_f32_e32 v123, 0xbf06c442, v122
	global_wb scope:SCOPE_SE
	v_dual_add_f32 v3, v3, v5 :: v_dual_fmamk_f32 v0, v82, 0x3f6eb680, v44
	v_mul_f32_e32 v47, 0xbf2c7751, v98
	s_barrier_signal -1
	s_barrier_wait -1
	global_inv scope:SCOPE_SE
	v_add_f32_e32 v0, v0, v4
	v_fma_f32 v41, 0x3f3d2fb0, v89, -v47
	v_fmamk_f32 v2, v82, 0x3f3d2fb0, v54
	v_mul_f32_e32 v61, 0xbf7ee86f, v98
	v_dual_add_f32 v93, v8, v22 :: v_dual_sub_f32 v104, v22, v8
	s_delay_alu instid0(VALU_DEP_3) | instskip(NEXT) | instid1(VALU_DEP_3)
	v_dual_add_f32 v1, v41, v1 :: v_dual_add_f32 v2, v2, v4
	v_fma_f32 v48, 0x3dbcf732, v89, -v61
	v_mul_f32_e32 v62, 0xbf65296c, v40
	s_delay_alu instid0(VALU_DEP_4) | instskip(SKIP_1) | instid1(VALU_DEP_3)
	v_dual_mul_f32 v70, 0xbf65296c, v90 :: v_dual_mul_f32 v49, 0xbf65296c, v104
	v_dual_add_f32 v94, v9, v23 :: v_dual_mul_f32 v67, 0xbf4c4adb, v104
	v_dual_add_f32 v3, v48, v3 :: v_dual_fmamk_f32 v38, v82, 0x3ee437d1, v62
	v_add_f32_e32 v99, v14, v28
	s_delay_alu instid0(VALU_DEP_3) | instskip(SKIP_3) | instid1(VALU_DEP_4)
	v_fma_f32 v50, 0x3ee437d1, v94, -v49
	v_mul_f32_e32 v46, 0xbf2c7751, v42
	v_fma_f32 v52, 0xbf1a4643, v94, -v67
	v_add_f32_e32 v38, v38, v4
	v_dual_sub_f32 v142, v29, v15 :: v_dual_add_f32 v1, v50, v1
	s_delay_alu instid0(VALU_DEP_4) | instskip(NEXT) | instid1(VALU_DEP_4)
	v_fmamk_f32 v39, v88, 0x3f3d2fb0, v46
	v_dual_mul_f32 v58, 0xbf7ee86f, v42 :: v_dual_add_f32 v3, v52, v3
	v_dual_mul_f32 v71, 0xbf4c4adb, v42 :: v_dual_add_f32 v100, v15, v29
	s_delay_alu instid0(VALU_DEP_4) | instskip(NEXT) | instid1(VALU_DEP_3)
	v_mul_f32_e32 v55, 0xbf7ee86f, v142
	v_fmamk_f32 v43, v88, 0x3dbcf732, v58
	v_dual_mul_f32 v140, 0x3f2c7751, v122 :: v_dual_add_f32 v105, v13, v31
	v_mul_f32_e32 v59, 0xbf763a35, v144
	s_delay_alu instid0(VALU_DEP_3) | instskip(SKIP_3) | instid1(VALU_DEP_3)
	v_dual_sub_f32 v141, v33, v19 :: v_dual_add_f32 v2, v43, v2
	v_sub_f32_e32 v43, v23, v9
	v_dual_add_f32 v0, v39, v0 :: v_dual_fmamk_f32 v39, v88, 0xbf1a4643, v71
	v_add_f32_e32 v106, v18, v32
	v_dual_sub_f32 v124, v34, v16 :: v_dual_mul_f32 v63, 0xbf4c4adb, v43
	v_mul_f32_e32 v48, 0xbf65296c, v43
	v_dual_mul_f32 v79, 0x3e3c28d5, v43 :: v_dual_sub_f32 v108, v28, v14
	s_delay_alu instid0(VALU_DEP_3) | instskip(NEXT) | instid1(VALU_DEP_3)
	v_dual_add_f32 v38, v39, v38 :: v_dual_fmamk_f32 v51, v93, 0xbf1a4643, v63
	v_fmamk_f32 v41, v93, 0x3ee437d1, v48
	s_delay_alu instid0(VALU_DEP_3) | instskip(NEXT) | instid1(VALU_DEP_4)
	v_fmamk_f32 v39, v93, 0xbf7ba420, v79
	v_mul_f32_e32 v56, 0xbf7ee86f, v108
	s_delay_alu instid0(VALU_DEP_4) | instskip(NEXT) | instid1(VALU_DEP_4)
	v_dual_mul_f32 v75, 0xbe3c28d5, v108 :: v_dual_add_f32 v2, v51, v2
	v_dual_add_f32 v0, v41, v0 :: v_dual_fmamk_f32 v41, v99, 0x3dbcf732, v55
	s_delay_alu instid0(VALU_DEP_3) | instskip(NEXT) | instid1(VALU_DEP_3)
	v_fma_f32 v50, 0x3dbcf732, v100, -v56
	v_fma_f32 v52, 0xbf7ba420, v100, -v75
	v_mul_f32_e32 v68, 0xbe3c28d5, v142
	v_add_f32_e32 v38, v39, v38
	s_delay_alu instid0(VALU_DEP_4) | instskip(SKIP_4) | instid1(VALU_DEP_4)
	v_dual_add_f32 v0, v41, v0 :: v_dual_add_f32 v1, v50, v1
	v_mul_f32_e32 v86, 0x3f763a35, v142
	v_dual_sub_f32 v114, v30, v12 :: v_dual_add_f32 v3, v52, v3
	v_fmamk_f32 v51, v99, 0xbf7ba420, v68
	v_fmamk_f32 v41, v103, 0xbe8c1d8e, v59
	;; [unrolled: 1-line block ×3, first 2 shown]
	s_delay_alu instid0(VALU_DEP_4) | instskip(NEXT) | instid1(VALU_DEP_4)
	v_dual_mul_f32 v66, 0x3f06c442, v144 :: v_dual_mul_f32 v81, 0x3f06c442, v114
	v_add_f32_e32 v2, v51, v2
	v_dual_add_f32 v113, v27, v25 :: v_dual_mul_f32 v120, 0xbf4c4adb, v98
	s_delay_alu instid0(VALU_DEP_4) | instskip(NEXT) | instid1(VALU_DEP_4)
	v_add_f32_e32 v38, v39, v38
	v_fma_f32 v52, 0xbf59a7d5, v105, -v81
	v_mul_f32_e32 v60, 0xbf763a35, v114
	v_dual_fmamk_f32 v51, v103, 0xbf59a7d5, v66 :: v_dual_add_f32 v0, v41, v0
	v_mul_f32_e32 v65, 0xbf4c4adb, v117
	s_delay_alu instid0(VALU_DEP_4) | instskip(NEXT) | instid1(VALU_DEP_4)
	v_dual_add_f32 v3, v52, v3 :: v_dual_mul_f32 v64, 0xbf4c4adb, v141
	v_fma_f32 v50, 0xbe8c1d8e, v105, -v60
	s_delay_alu instid0(VALU_DEP_4)
	v_add_f32_e32 v2, v51, v2
	v_fmamk_f32 v39, v103, 0x3f3d2fb0, v92
	v_mul_f32_e32 v101, 0xbeb8f4ab, v141
	v_mul_f32_e32 v77, 0x3f763a35, v141
	;; [unrolled: 1-line block ×3, first 2 shown]
	v_dual_mul_f32 v115, 0x3f763a35, v108 :: v_dual_mul_f32 v130, 0x3f763a35, v43
	v_dual_add_f32 v38, v39, v38 :: v_dual_mul_f32 v125, 0xbf06c442, v141
	v_mul_f32_e32 v131, 0x3eb8f4ab, v142
	v_dual_fmamk_f32 v41, v106, 0xbf1a4643, v64 :: v_dual_add_f32 v110, v16, v34
	v_add_f32_e32 v107, v19, v33
	v_add_f32_e32 v1, v50, v1
	s_delay_alu instid0(VALU_DEP_3) | instskip(SKIP_1) | instid1(VALU_DEP_4)
	v_dual_fmamk_f32 v39, v106, 0x3f6eb680, v101 :: v_dual_add_f32 v0, v41, v0
	v_sub_f32_e32 v143, v35, v17
	v_fma_f32 v50, 0xbf1a4643, v107, -v65
	s_delay_alu instid0(VALU_DEP_3) | instskip(NEXT) | instid1(VALU_DEP_3)
	v_dual_fmamk_f32 v51, v106, 0xbe8c1d8e, v77 :: v_dual_add_f32 v38, v39, v38
	v_dual_mul_f32 v76, 0xbf06c442, v124 :: v_dual_mul_f32 v69, 0xbf06c442, v143
	v_add_f32_e32 v112, v26, v24
	s_delay_alu instid0(VALU_DEP_4) | instskip(NEXT) | instid1(VALU_DEP_4)
	v_add_f32_e32 v1, v50, v1
	v_dual_mul_f32 v87, 0x3f763a35, v117 :: v_dual_add_f32 v2, v51, v2
	s_delay_alu instid0(VALU_DEP_4) | instskip(SKIP_1) | instid1(VALU_DEP_3)
	v_fma_f32 v50, 0xbf59a7d5, v111, -v76
	v_dual_mul_f32 v127, 0xbf65296c, v144 :: v_dual_mul_f32 v152, 0xbf65296c, v142
	v_fma_f32 v52, 0xbe8c1d8e, v107, -v87
	s_delay_alu instid0(VALU_DEP_3) | instskip(SKIP_2) | instid1(VALU_DEP_4)
	v_dual_mul_f32 v162, 0x3f06c442, v98 :: v_dual_add_f32 v1, v50, v1
	v_fma_f32 v50, 0xbf7ba420, v113, -v80
	v_mul_f32_e32 v91, 0x3eb8f4ab, v122
	v_add_f32_e32 v3, v52, v3
	v_fma_f32 v52, 0xbf1a4643, v89, -v120
	s_delay_alu instid0(VALU_DEP_4)
	v_dual_mul_f32 v157, 0x3f2c7751, v104 :: v_dual_add_f32 v74, v50, v1
	v_fmamk_f32 v1, v112, 0xbf59a7d5, v109
	v_fmamk_f32 v41, v110, 0xbf59a7d5, v69
	v_fma_f32 v53, 0x3f6eb680, v113, -v91
	v_fma_f32 v50, 0x3dbcf732, v85, -v133
	v_mul_f32_e32 v139, 0x3f4c4adb, v124
	v_dual_mul_f32 v137, 0xbf65296c, v114 :: v_dual_mul_f32 v158, 0xbf65296c, v108
	v_dual_add_f32 v0, v41, v0 :: v_dual_mul_f32 v83, 0x3f65296c, v143
	v_mul_f32_e32 v102, 0xbf7ee86f, v143
	v_mul_f32_e32 v78, 0xbe3c28d5, v145
	;; [unrolled: 1-line block ×4, first 2 shown]
	v_fmamk_f32 v39, v110, 0x3ee437d1, v83
	v_fma_f32 v163, 0x3f3d2fb0, v113, -v140
	v_fmamk_f32 v41, v112, 0xbf7ba420, v78
	v_mul_f32_e32 v160, 0x3f7ee86f, v117
	s_delay_alu instid0(VALU_DEP_4) | instskip(SKIP_1) | instid1(VALU_DEP_4)
	v_dual_mul_f32 v155, 0xbeb8f4ab, v124 :: v_dual_add_f32 v2, v39, v2
	v_fmamk_f32 v39, v110, 0x3dbcf732, v102
	v_add_f32_e32 v73, v41, v0
	v_fma_f32 v41, 0xbe8c1d8e, v100, -v115
	v_mul_f32_e32 v116, 0x3f2c7751, v114
	v_fma_f32 v132, 0xbf1a4643, v111, -v139
	v_add_f32_e32 v38, v39, v38
	v_fma_f32 v39, 0x3ee437d1, v85, -v70
	v_mul_f32_e32 v151, 0x3f2c7751, v43
	v_mul_f32_e32 v147, 0x3f7ee86f, v141
	;; [unrolled: 1-line block ×4, first 2 shown]
	v_add_f32_e32 v39, v39, v5
	v_mul_f32_e32 v97, 0x3f65296c, v124
	v_mul_f32_e32 v118, 0xbeb8f4ab, v117
	;; [unrolled: 1-line block ×4, first 2 shown]
	v_add_f32_e32 v0, v52, v39
	v_fma_f32 v51, 0x3ee437d1, v111, -v97
	v_fma_f32 v39, 0xbf7ba420, v94, -v119
	v_mul_f32_e32 v136, 0x3eb8f4ab, v108
	v_mul_f32_e32 v150, 0x3f06c442, v42
	s_delay_alu instid0(VALU_DEP_4) | instskip(NEXT) | instid1(VALU_DEP_4)
	v_dual_mul_f32 v138, 0xbf06c442, v117 :: v_dual_add_f32 v3, v51, v3
	v_dual_add_f32 v39, v39, v0 :: v_dual_add_f32 v0, v1, v38
	v_fma_f32 v38, 0x3f3d2fb0, v105, -v116
	s_delay_alu instid0(VALU_DEP_3) | instskip(NEXT) | instid1(VALU_DEP_3)
	v_dual_mul_f32 v148, 0xbf763a35, v40 :: v_dual_add_f32 v3, v53, v3
	v_add_f32_e32 v1, v41, v39
	v_fmamk_f32 v39, v82, 0x3dbcf732, v129
	v_fmamk_f32 v41, v88, 0xbf7ba420, v128
	v_fma_f32 v53, 0xbf59a7d5, v89, -v162
	s_delay_alu instid0(VALU_DEP_4) | instskip(SKIP_3) | instid1(VALU_DEP_3)
	v_dual_fmamk_f32 v52, v88, 0xbf59a7d5, v150 :: v_dual_add_f32 v1, v38, v1
	v_fma_f32 v38, 0x3f6eb680, v107, -v118
	v_add_f32_e32 v39, v39, v4
	v_fmamk_f32 v51, v112, 0x3f6eb680, v84
	v_dual_mul_f32 v154, 0xbf4c4adb, v122 :: v_dual_add_f32 v1, v38, v1
	s_delay_alu instid0(VALU_DEP_3) | instskip(SKIP_1) | instid1(VALU_DEP_4)
	v_dual_add_f32 v38, v41, v39 :: v_dual_add_f32 v39, v50, v5
	v_fmamk_f32 v50, v93, 0xbe8c1d8e, v130
	v_add_f32_e32 v2, v51, v2
	s_delay_alu instid0(VALU_DEP_4) | instskip(NEXT) | instid1(VALU_DEP_3)
	v_fma_f32 v165, 0xbf1a4643, v113, -v154
	v_add_f32_e32 v38, v50, v38
	v_fmamk_f32 v50, v99, 0x3f6eb680, v131
	s_delay_alu instid0(VALU_DEP_1) | instskip(SKIP_1) | instid1(VALU_DEP_1)
	v_add_f32_e32 v38, v50, v38
	v_fmamk_f32 v50, v103, 0x3ee437d1, v127
	v_add_f32_e32 v38, v50, v38
	v_fmamk_f32 v50, v106, 0xbf59a7d5, v125
	s_delay_alu instid0(VALU_DEP_1) | instskip(SKIP_1) | instid1(VALU_DEP_1)
	v_add_f32_e32 v38, v50, v38
	v_fmamk_f32 v50, v110, 0xbf1a4643, v126
	v_add_f32_e32 v38, v50, v38
	v_fma_f32 v50, 0xbe8c1d8e, v85, -v161
	s_delay_alu instid0(VALU_DEP_1) | instskip(NEXT) | instid1(VALU_DEP_1)
	v_add_f32_e32 v50, v50, v5
	v_add_f32_e32 v50, v53, v50
	v_fma_f32 v53, 0x3f3d2fb0, v94, -v157
	s_delay_alu instid0(VALU_DEP_1) | instskip(SKIP_1) | instid1(VALU_DEP_1)
	v_add_f32_e32 v50, v53, v50
	v_fma_f32 v53, 0x3ee437d1, v100, -v158
	v_add_f32_e32 v50, v53, v50
	v_fma_f32 v53, 0xbf7ba420, v105, -v159
	s_delay_alu instid0(VALU_DEP_1) | instskip(SKIP_1) | instid1(VALU_DEP_2)
	v_dual_mul_f32 v121, 0xbf7ee86f, v124 :: v_dual_add_f32 v50, v53, v50
	v_fma_f32 v53, 0x3dbcf732, v107, -v160
	v_fma_f32 v51, 0x3dbcf732, v111, -v121
	s_delay_alu instid0(VALU_DEP_2) | instskip(SKIP_1) | instid1(VALU_DEP_3)
	v_add_f32_e32 v50, v53, v50
	v_fma_f32 v53, 0x3f6eb680, v111, -v155
	v_add_f32_e32 v1, v51, v1
	v_fma_f32 v51, 0xbf59a7d5, v113, -v123
	s_delay_alu instid0(VALU_DEP_3) | instskip(SKIP_1) | instid1(VALU_DEP_3)
	v_add_f32_e32 v164, v53, v50
	v_mul_f32_e32 v146, 0xbf4c4adb, v145
	v_add_f32_e32 v1, v51, v1
	s_delay_alu instid0(VALU_DEP_2) | instskip(SKIP_1) | instid1(VALU_DEP_1)
	v_dual_add_f32 v51, v165, v164 :: v_dual_fmamk_f32 v50, v112, 0xbf1a4643, v146
	v_mul_f32_e32 v135, 0xbe3c28d5, v98
	v_fma_f32 v41, 0xbf7ba420, v89, -v135
	s_delay_alu instid0(VALU_DEP_1) | instskip(SKIP_1) | instid1(VALU_DEP_1)
	v_add_f32_e32 v39, v41, v39
	v_fma_f32 v41, 0xbe8c1d8e, v94, -v134
	v_add_f32_e32 v39, v41, v39
	v_fma_f32 v41, 0x3f6eb680, v100, -v136
	s_delay_alu instid0(VALU_DEP_1) | instskip(SKIP_1) | instid1(VALU_DEP_1)
	v_add_f32_e32 v39, v41, v39
	v_fma_f32 v41, 0x3ee437d1, v105, -v137
	v_add_f32_e32 v39, v41, v39
	v_fma_f32 v41, 0xbf59a7d5, v107, -v138
	s_delay_alu instid0(VALU_DEP_1) | instskip(NEXT) | instid1(VALU_DEP_1)
	v_add_f32_e32 v39, v41, v39
	v_dual_add_f32 v39, v132, v39 :: v_dual_mul_f32 v132, 0x3f2c7751, v145
	s_delay_alu instid0(VALU_DEP_1) | instskip(SKIP_1) | instid1(VALU_DEP_1)
	v_fmamk_f32 v156, v112, 0x3f3d2fb0, v132
	v_fmamk_f32 v41, v82, 0xbe8c1d8e, v148
	v_add_f32_e32 v41, v41, v4
	s_delay_alu instid0(VALU_DEP_1) | instskip(NEXT) | instid1(VALU_DEP_1)
	v_dual_add_f32 v41, v52, v41 :: v_dual_fmamk_f32 v52, v93, 0x3f3d2fb0, v151
	v_dual_add_f32 v41, v52, v41 :: v_dual_fmamk_f32 v52, v99, 0x3ee437d1, v152
	v_add_f32_e32 v53, v163, v39
	s_delay_alu instid0(VALU_DEP_2) | instskip(NEXT) | instid1(VALU_DEP_1)
	v_dual_add_f32 v41, v52, v41 :: v_dual_fmamk_f32 v52, v103, 0xbf7ba420, v153
	v_dual_add_f32 v41, v52, v41 :: v_dual_fmamk_f32 v52, v106, 0x3dbcf732, v147
	s_delay_alu instid0(VALU_DEP_1) | instskip(NEXT) | instid1(VALU_DEP_1)
	v_dual_add_f32 v41, v52, v41 :: v_dual_fmamk_f32 v52, v110, 0x3f6eb680, v149
	v_add_f32_e32 v41, v52, v41
	v_add_f32_e32 v52, v156, v38
	s_delay_alu instid0(VALU_DEP_2)
	v_add_f32_e32 v50, v50, v41
	s_and_saveexec_b32 s0, vcc_lo
	s_cbranch_execz .LBB0_7
; %bb.6:
	v_mul_f32_e32 v165, 0xbf4c4adb, v40
	v_mul_f32_e32 v172, 0xbf1a4643, v85
	;; [unrolled: 1-line block ×3, first 2 shown]
	v_dual_mul_f32 v173, 0x3f6eb680, v94 :: v_dual_mul_f32 v186, 0x3f6eb680, v105
	s_delay_alu instid0(VALU_DEP_4) | instskip(NEXT) | instid1(VALU_DEP_4)
	v_fmamk_f32 v39, v82, 0xbf1a4643, v165
	v_fmamk_f32 v38, v90, 0x3f4c4adb, v172
	s_delay_alu instid0(VALU_DEP_4) | instskip(SKIP_2) | instid1(VALU_DEP_4)
	v_fmamk_f32 v181, v98, 0xbf65296c, v179
	v_mul_f32_e32 v167, 0x3f763a35, v42
	v_mul_f32_e32 v171, 0xbe8c1d8e, v89
	v_dual_add_f32 v39, v39, v4 :: v_dual_add_f32 v38, v38, v5
	v_fmamk_f32 v163, v104, 0x3eb8f4ab, v173
	s_delay_alu instid0(VALU_DEP_4) | instskip(NEXT) | instid1(VALU_DEP_4)
	v_fmamk_f32 v156, v88, 0xbe8c1d8e, v167
	v_fmamk_f32 v41, v98, 0xbf763a35, v171
	v_mul_f32_e32 v174, 0xbf59a7d5, v100
	v_mul_f32_e32 v178, 0xbf59a7d5, v85
	v_mul_f32_e32 v185, 0x3f65296c, v42
	s_delay_alu instid0(VALU_DEP_4) | instskip(NEXT) | instid1(VALU_DEP_4)
	v_dual_add_f32 v39, v156, v39 :: v_dual_add_f32 v38, v41, v38
	v_fmamk_f32 v156, v108, 0x3f06c442, v174
	v_mul_f32_e32 v170, 0xbe3c28d5, v143
	v_mul_f32_e32 v202, 0x3eb8f4ab, v42
	;; [unrolled: 1-line block ×3, first 2 shown]
	v_dual_add_f32 v38, v163, v38 :: v_dual_fmamk_f32 v163, v90, 0x3f06c442, v178
	v_mul_f32_e32 v164, 0xbeb8f4ab, v43
	s_delay_alu instid0(VALU_DEP_4) | instskip(SKIP_1) | instid1(VALU_DEP_4)
	v_fmamk_f32 v203, v88, 0x3f6eb680, v202
	v_mul_f32_e32 v182, 0x3dbcf732, v94
	v_dual_add_f32 v38, v156, v38 :: v_dual_mul_f32 v169, 0x3f7ee86f, v144
	v_add_f32_e32 v163, v163, v5
	v_fmamk_f32 v41, v93, 0x3f6eb680, v164
	v_mul_f32_e32 v166, 0xbf06c442, v142
	s_delay_alu instid0(VALU_DEP_4) | instskip(NEXT) | instid1(VALU_DEP_3)
	v_dual_mul_f32 v175, 0x3dbcf732, v105 :: v_dual_fmamk_f32 v156, v103, 0x3dbcf732, v169
	v_dual_mul_f32 v190, 0x3f4c4adb, v142 :: v_dual_add_f32 v39, v41, v39
	s_delay_alu instid0(VALU_DEP_3) | instskip(NEXT) | instid1(VALU_DEP_3)
	v_fmamk_f32 v168, v99, 0xbf59a7d5, v166
	v_fmamk_f32 v41, v114, 0xbf7ee86f, v175
	v_mul_f32_e32 v191, 0x3f3d2fb0, v111
	v_mul_f32_e32 v197, 0x3f6eb680, v89
	s_delay_alu instid0(VALU_DEP_4) | instskip(SKIP_3) | instid1(VALU_DEP_3)
	v_dual_mul_f32 v192, 0xbeb8f4ab, v144 :: v_dual_add_f32 v39, v168, v39
	v_mul_f32_e32 v168, 0xbf2c7751, v141
	v_dual_fmamk_f32 v187, v88, 0x3ee437d1, v185 :: v_dual_add_f32 v38, v41, v38
	v_fmamk_f32 v194, v124, 0xbf2c7751, v191
	v_dual_add_f32 v39, v156, v39 :: v_dual_fmamk_f32 v156, v106, 0x3f3d2fb0, v168
	v_mul_f32_e32 v195, 0xbe3c28d5, v141
	v_fmamk_f32 v199, v98, 0xbeb8f4ab, v197
	v_mul_f32_e32 v206, 0xbe8c1d8e, v111
	v_mul_f32_e32 v189, 0xbf7ba420, v107
	v_dual_add_f32 v39, v156, v39 :: v_dual_mul_f32 v156, 0x3ee437d1, v113
	v_mul_f32_e32 v204, 0xbf06c442, v43
	s_delay_alu instid0(VALU_DEP_4)
	v_fmamk_f32 v207, v124, 0x3f763a35, v206
	v_mul_f32_e32 v200, 0xbf59a7d5, v94
	v_fmac_f32_e32 v178, 0xbf06c442, v90
	v_fmamk_f32 v180, v122, 0xbf65296c, v156
	v_mul_f32_e32 v176, 0x3f3d2fb0, v107
	v_mul_f32_e32 v205, 0x3ee437d1, v107
	v_fmac_f32_e32 v191, 0x3f2c7751, v124
	v_fmac_f32_e32 v172, 0xbf4c4adb, v90
	;; [unrolled: 1-line block ×3, first 2 shown]
	v_fmamk_f32 v41, v117, 0x3f2c7751, v176
	v_mul_f32_e32 v177, 0xbf7ba420, v111
	v_fmac_f32_e32 v171, 0x3f763a35, v98
	v_fmac_f32_e32 v175, 0x3f7ee86f, v114
	s_delay_alu instid0(VALU_DEP_4) | instskip(NEXT) | instid1(VALU_DEP_4)
	v_dual_fmac_f32 v173, 0xbeb8f4ab, v104 :: v_dual_add_f32 v38, v41, v38
	v_fmamk_f32 v41, v124, 0x3e3c28d5, v177
	v_fmac_f32_e32 v177, 0xbe3c28d5, v124
	s_delay_alu instid0(VALU_DEP_2) | instskip(SKIP_1) | instid1(VALU_DEP_2)
	v_dual_add_f32 v7, v7, v5 :: v_dual_add_f32 v38, v41, v38
	v_fmamk_f32 v41, v110, 0xbf7ba420, v170
	v_add_f32_e32 v7, v21, v7
	s_delay_alu instid0(VALU_DEP_2) | instskip(NEXT) | instid1(VALU_DEP_4)
	v_add_f32_e32 v41, v41, v39
	v_dual_add_f32 v39, v180, v38 :: v_dual_mul_f32 v180, 0xbf06c442, v40
	s_delay_alu instid0(VALU_DEP_1) | instskip(NEXT) | instid1(VALU_DEP_1)
	v_dual_add_f32 v7, v23, v7 :: v_dual_fmamk_f32 v184, v82, 0xbf59a7d5, v180
	v_dual_add_f32 v7, v29, v7 :: v_dual_add_f32 v184, v184, v4
	s_delay_alu instid0(VALU_DEP_1) | instskip(NEXT) | instid1(VALU_DEP_2)
	v_add_f32_e32 v7, v31, v7
	v_dual_add_f32 v184, v187, v184 :: v_dual_fmamk_f32 v187, v93, 0x3dbcf732, v188
	v_fmac_f32_e32 v179, 0x3f65296c, v98
	s_delay_alu instid0(VALU_DEP_2) | instskip(SKIP_2) | instid1(VALU_DEP_3)
	v_dual_add_f32 v7, v33, v7 :: v_dual_add_f32 v184, v187, v184
	v_dual_fmamk_f32 v187, v99, 0xbf1a4643, v190 :: v_dual_add_f32 v38, v181, v163
	v_fmamk_f32 v181, v104, 0x3f7ee86f, v182
	v_dual_fmac_f32 v182, 0xbf7ee86f, v104 :: v_dual_add_f32 v7, v35, v7
	s_delay_alu instid0(VALU_DEP_3) | instskip(SKIP_1) | instid1(VALU_DEP_4)
	v_add_f32_e32 v184, v187, v184
	v_fmamk_f32 v187, v103, 0x3f6eb680, v192
	v_dual_mul_f32 v163, 0x3f65296c, v145 :: v_dual_add_f32 v38, v181, v38
	s_delay_alu instid0(VALU_DEP_2) | instskip(NEXT) | instid1(VALU_DEP_2)
	v_dual_add_f32 v7, v25, v7 :: v_dual_add_f32 v184, v187, v184
	v_fmamk_f32 v193, v112, 0x3ee437d1, v163
	v_mul_f32_e32 v183, 0xbf1a4643, v100
	v_fmamk_f32 v187, v106, 0xbf7ba420, v195
	v_fma_f32 v163, 0x3ee437d1, v112, -v163
	v_add_f32_e32 v7, v27, v7
	s_delay_alu instid0(VALU_DEP_3) | instskip(NEXT) | instid1(VALU_DEP_2)
	v_dual_add_f32 v184, v187, v184 :: v_dual_fmamk_f32 v181, v108, 0xbf4c4adb, v183
	v_add_f32_e32 v7, v17, v7
	s_delay_alu instid0(VALU_DEP_2) | instskip(NEXT) | instid1(VALU_DEP_2)
	v_dual_add_f32 v38, v181, v38 :: v_dual_fmamk_f32 v181, v114, 0x3eb8f4ab, v186
	v_dual_fmac_f32 v186, 0xbeb8f4ab, v114 :: v_dual_add_f32 v7, v19, v7
	s_delay_alu instid0(VALU_DEP_2) | instskip(SKIP_1) | instid1(VALU_DEP_3)
	v_add_f32_e32 v38, v181, v38
	v_fmamk_f32 v181, v117, 0x3e3c28d5, v189
	v_add_f32_e32 v7, v13, v7
	s_delay_alu instid0(VALU_DEP_2) | instskip(SKIP_2) | instid1(VALU_DEP_4)
	v_add_f32_e32 v181, v181, v38
	v_dual_add_f32 v38, v193, v41 :: v_dual_mul_f32 v193, 0x3f2c7751, v143
	v_fmac_f32_e32 v183, 0x3f4c4adb, v108
	v_add_f32_e32 v7, v15, v7
	s_delay_alu instid0(VALU_DEP_3) | instskip(NEXT) | instid1(VALU_DEP_2)
	v_fmamk_f32 v187, v110, 0x3f3d2fb0, v193
	v_add_f32_e32 v7, v9, v7
	v_mul_lo_u16 v9, v96, 17
	s_delay_alu instid0(VALU_DEP_3) | instskip(SKIP_1) | instid1(VALU_DEP_4)
	v_add_f32_e32 v184, v187, v184
	v_mul_f32_e32 v187, 0xbe3c28d5, v40
	v_add_f32_e32 v11, v11, v7
	s_delay_alu instid0(VALU_DEP_4) | instskip(NEXT) | instid1(VALU_DEP_3)
	v_and_b32_e32 v15, 0xffff, v9
	v_fmamk_f32 v201, v82, 0xbf7ba420, v187
	s_delay_alu instid0(VALU_DEP_1) | instskip(NEXT) | instid1(VALU_DEP_1)
	v_add_f32_e32 v201, v201, v4
	v_add_f32_e32 v43, v203, v201
	v_fmamk_f32 v201, v93, 0xbf59a7d5, v204
	v_mul_f32_e32 v203, 0x3f2c7751, v142
	s_delay_alu instid0(VALU_DEP_1) | instskip(SKIP_1) | instid1(VALU_DEP_2)
	v_dual_add_f32 v43, v201, v43 :: v_dual_fmamk_f32 v142, v99, 0x3f3d2fb0, v203
	v_mul_f32_e32 v201, 0xbf4c4adb, v144
	v_add_f32_e32 v43, v142, v43
	v_add_f32_e32 v41, v194, v181
	v_mul_f32_e32 v181, 0xbf7ba420, v85
	s_delay_alu instid0(VALU_DEP_4) | instskip(SKIP_1) | instid1(VALU_DEP_3)
	v_fmamk_f32 v142, v103, 0xbf1a4643, v201
	v_mul_f32_e32 v194, 0xbe8c1d8e, v113
	v_fmamk_f32 v196, v90, 0x3e3c28d5, v181
	s_delay_alu instid0(VALU_DEP_3) | instskip(NEXT) | instid1(VALU_DEP_3)
	v_add_f32_e32 v43, v142, v43
	v_fmamk_f32 v198, v122, 0x3f763a35, v194
	v_fmac_f32_e32 v194, 0xbf763a35, v122
	s_delay_alu instid0(VALU_DEP_4) | instskip(NEXT) | instid1(VALU_DEP_3)
	v_add_f32_e32 v196, v196, v5
	v_dual_add_f32 v41, v198, v41 :: v_dual_mul_f32 v198, 0x3f3d2fb0, v100
	s_delay_alu instid0(VALU_DEP_2) | instskip(SKIP_2) | instid1(VALU_DEP_4)
	v_add_f32_e32 v40, v199, v196
	v_fmamk_f32 v196, v104, 0x3f06c442, v200
	v_fmac_f32_e32 v189, 0xbe3c28d5, v117
	v_fmamk_f32 v42, v108, 0xbf2c7751, v198
	v_mul_f32_e32 v199, 0xbf763a35, v145
	s_delay_alu instid0(VALU_DEP_4) | instskip(SKIP_1) | instid1(VALU_DEP_2)
	v_dual_mul_f32 v145, 0x3f7ee86f, v145 :: v_dual_add_f32 v40, v196, v40
	v_mul_f32_e32 v196, 0xbf1a4643, v105
	v_add_f32_e32 v40, v42, v40
	s_delay_alu instid0(VALU_DEP_2) | instskip(SKIP_2) | instid1(VALU_DEP_3)
	v_fmamk_f32 v42, v114, 0x3f4c4adb, v196
	v_fmac_f32_e32 v196, 0xbf4c4adb, v114
	v_mul_f32_e32 v114, 0x3ee437d1, v85
	v_add_f32_e32 v40, v42, v40
	v_fmamk_f32 v42, v117, 0xbf65296c, v205
	s_delay_alu instid0(VALU_DEP_1) | instskip(NEXT) | instid1(VALU_DEP_1)
	v_add_f32_e32 v42, v42, v40
	v_add_f32_e32 v42, v207, v42
	v_fmamk_f32 v144, v112, 0xbe8c1d8e, v199
	s_delay_alu instid0(VALU_DEP_1) | instskip(SKIP_4) | instid1(VALU_DEP_4)
	v_add_f32_e32 v40, v144, v184
	v_fma_f32 v144, 0xbf59a7d5, v82, -v180
	v_mul_f32_e32 v180, 0x3f65296c, v141
	v_dual_add_f32 v141, v178, v5 :: v_dual_mul_f32 v184, 0xbf763a35, v143
	v_fma_f32 v143, 0x3dbcf732, v93, -v188
	v_add_f32_e32 v142, v144, v4
	v_fma_f32 v144, 0x3ee437d1, v88, -v185
	s_delay_alu instid0(VALU_DEP_4) | instskip(SKIP_1) | instid1(VALU_DEP_3)
	v_dual_fmamk_f32 v178, v106, 0x3ee437d1, v180 :: v_dual_add_f32 v141, v179, v141
	v_fmac_f32_e32 v181, 0xbe3c28d5, v90
	v_dual_fmac_f32 v205, 0x3f65296c, v117 :: v_dual_add_f32 v142, v144, v142
	s_delay_alu instid0(VALU_DEP_3)
	v_add_f32_e32 v43, v178, v43
	v_fmamk_f32 v144, v110, 0xbe8c1d8e, v184
	v_add_f32_e32 v141, v182, v141
	v_mul_f32_e32 v178, 0x3dbcf732, v113
	v_add_f32_e32 v142, v143, v142
	v_fma_f32 v143, 0xbf1a4643, v99, -v190
	s_delay_alu instid0(VALU_DEP_4) | instskip(SKIP_2) | instid1(VALU_DEP_4)
	v_dual_add_f32 v144, v144, v43 :: v_dual_add_f32 v43, v183, v141
	v_mul_f32_e32 v182, 0x3f3d2fb0, v94
	v_fmac_f32_e32 v197, 0x3eb8f4ab, v98
	v_add_f32_e32 v141, v143, v142
	v_fma_f32 v142, 0x3f6eb680, v103, -v192
	v_add_f32_e32 v179, v186, v43
	v_add_f32_e32 v157, v157, v182
	v_fmamk_f32 v143, v122, 0xbf7ee86f, v178
	s_delay_alu instid0(VALU_DEP_4) | instskip(SKIP_1) | instid1(VALU_DEP_3)
	v_add_f32_e32 v141, v142, v141
	v_fma_f32 v142, 0xbf7ba420, v106, -v195
	v_dual_fmac_f32 v206, 0xbf763a35, v124 :: v_dual_add_f32 v43, v143, v42
	v_add_f32_e32 v143, v189, v179
	v_mul_f32_e32 v179, 0xbe8c1d8e, v85
	s_delay_alu instid0(VALU_DEP_4) | instskip(SKIP_1) | instid1(VALU_DEP_4)
	v_add_f32_e32 v141, v142, v141
	v_fma_f32 v142, 0x3f3d2fb0, v110, -v193
	v_dual_mul_f32 v124, 0xbf1a4643, v89 :: v_dual_add_f32 v143, v191, v143
	s_delay_alu instid0(VALU_DEP_2) | instskip(SKIP_1) | instid1(VALU_DEP_2)
	v_dual_add_f32 v141, v142, v141 :: v_dual_add_f32 v142, v161, v179
	v_fma_f32 v161, 0xbe8c1d8e, v112, -v199
	v_add_f32_e32 v179, v142, v5
	s_delay_alu instid0(VALU_DEP_4) | instskip(NEXT) | instid1(VALU_DEP_3)
	v_dual_add_f32 v142, v194, v143 :: v_dual_mul_f32 v143, 0xbf59a7d5, v88
	v_add_f32_e32 v141, v161, v141
	v_fma_f32 v161, 0x3dbcf732, v103, -v169
	s_delay_alu instid0(VALU_DEP_3) | instskip(SKIP_1) | instid1(VALU_DEP_2)
	v_dual_sub_f32 v143, v143, v150 :: v_dual_fmamk_f32 v42, v112, 0x3dbcf732, v145
	v_mul_f32_e32 v150, 0x3f3d2fb0, v93
	v_add_f32_e32 v42, v42, v144
	v_mul_f32_e32 v144, 0xbf59a7d5, v89
	s_delay_alu instid0(VALU_DEP_1) | instskip(SKIP_1) | instid1(VALU_DEP_2)
	v_add_f32_e32 v144, v162, v144
	v_mul_f32_e32 v162, 0xbe8c1d8e, v82
	v_add_f32_e32 v144, v144, v179
	s_delay_alu instid0(VALU_DEP_2) | instskip(NEXT) | instid1(VALU_DEP_2)
	v_sub_f32_e32 v148, v162, v148
	v_add_f32_e32 v144, v157, v144
	s_delay_alu instid0(VALU_DEP_2) | instskip(SKIP_1) | instid1(VALU_DEP_2)
	v_add_f32_e32 v148, v148, v4
	v_fma_f32 v145, 0x3dbcf732, v112, -v145
	v_dual_add_f32 v143, v143, v148 :: v_dual_sub_f32 v148, v150, v151
	v_mul_f32_e32 v150, 0x3ee437d1, v99
	s_delay_alu instid0(VALU_DEP_1) | instskip(SKIP_2) | instid1(VALU_DEP_3)
	v_dual_add_f32 v143, v148, v143 :: v_dual_sub_f32 v148, v150, v152
	v_mul_f32_e32 v162, 0x3ee437d1, v100
	v_mul_f32_e32 v150, 0xbf7ba420, v103
	v_add_f32_e32 v143, v148, v143
	s_delay_alu instid0(VALU_DEP_3) | instskip(SKIP_1) | instid1(VALU_DEP_2)
	v_dual_mul_f32 v148, 0x3f6eb680, v111 :: v_dual_add_f32 v157, v158, v162
	v_fma_f32 v162, 0x3f3d2fb0, v106, -v168
	v_add_f32_e32 v148, v155, v148
	v_dual_mul_f32 v155, 0xbf7ba420, v88 :: v_dual_sub_f32 v150, v150, v153
	v_mul_f32_e32 v158, 0xbf7ba420, v105
	v_dual_add_f32 v144, v157, v144 :: v_dual_mul_f32 v157, 0x3dbcf732, v107
	v_mul_f32_e32 v153, 0x3dbcf732, v88
	s_delay_alu instid0(VALU_DEP_4) | instskip(NEXT) | instid1(VALU_DEP_4)
	v_add_f32_e32 v143, v150, v143
	v_add_f32_e32 v151, v159, v158
	v_mul_f32_e32 v152, 0x3dbcf732, v106
	v_fma_f32 v159, 0x3f6eb680, v93, -v164
	v_fma_f32 v164, 0xbf7ba420, v110, -v170
	v_sub_f32_e32 v58, v153, v58
	v_dual_add_f32 v144, v151, v144 :: v_dual_add_f32 v151, v160, v157
	v_sub_f32_e32 v147, v152, v147
	v_fma_f32 v152, 0xbe8c1d8e, v110, -v184
	v_mul_f32_e32 v157, 0x3ee437d1, v93
	v_fma_f32 v160, 0xbf59a7d5, v99, -v166
	v_dual_add_f32 v144, v151, v144 :: v_dual_mul_f32 v151, 0xbf1a4643, v113
	v_dual_add_f32 v150, v181, v5 :: v_dual_add_f32 v143, v147, v143
	s_delay_alu instid0(VALU_DEP_1) | instskip(NEXT) | instid1(VALU_DEP_1)
	v_dual_fmac_f32 v200, 0xbf06c442, v104 :: v_dual_add_f32 v147, v197, v150
	v_dual_mul_f32 v150, 0xbf1a4643, v112 :: v_dual_add_f32 v147, v200, v147
	s_delay_alu instid0(VALU_DEP_1) | instskip(SKIP_3) | instid1(VALU_DEP_3)
	v_sub_f32_e32 v146, v150, v146
	v_fmac_f32_e32 v198, 0x3f2c7751, v108
	v_add_f32_e32 v144, v148, v144
	v_fma_f32 v150, 0x3f6eb680, v88, -v202
	v_dual_add_f32 v147, v198, v147 :: v_dual_mul_f32 v148, 0x3f6eb680, v110
	s_delay_alu instid0(VALU_DEP_1) | instskip(NEXT) | instid1(VALU_DEP_2)
	v_add_f32_e32 v147, v196, v147
	v_dual_sub_f32 v148, v148, v149 :: v_dual_add_f32 v149, v154, v151
	v_fma_f32 v151, 0xbf7ba420, v82, -v187
	v_mul_f32_e32 v154, 0xbf1a4643, v88
	s_delay_alu instid0(VALU_DEP_4) | instskip(NEXT) | instid1(VALU_DEP_4)
	v_add_f32_e32 v104, v205, v147
	v_add_f32_e32 v143, v148, v143
	v_fma_f32 v147, 0xbf1a4643, v103, -v201
	v_add_f32_e32 v148, v151, v4
	v_add_f32_e32 v144, v149, v144
	v_fma_f32 v149, 0x3ee437d1, v106, -v180
	v_mul_f32_e32 v151, 0x3f3d2fb0, v88
	v_add_f32_e32 v143, v146, v143
	v_add_f32_e32 v90, v150, v148
	v_fma_f32 v148, 0xbf59a7d5, v93, -v204
	v_mul_f32_e32 v150, 0x3ee437d1, v82
	v_fma_f32 v88, 0xbe8c1d8e, v88, -v167
	s_delay_alu instid0(VALU_DEP_3) | instskip(SKIP_1) | instid1(VALU_DEP_1)
	v_add_f32_e32 v90, v148, v90
	v_fma_f32 v148, 0x3f3d2fb0, v99, -v203
	v_add_f32_e32 v90, v148, v90
	v_mul_f32_e32 v148, 0x3f6eb680, v85
	s_delay_alu instid0(VALU_DEP_2) | instskip(NEXT) | instid1(VALU_DEP_1)
	v_dual_add_f32 v90, v147, v90 :: v_dual_mul_f32 v147, 0x3f3d2fb0, v85
	v_dual_mul_f32 v85, 0x3dbcf732, v85 :: v_dual_add_f32 v90, v149, v90
	v_mul_f32_e32 v149, 0x3dbcf732, v82
	s_delay_alu instid0(VALU_DEP_2) | instskip(SKIP_1) | instid1(VALU_DEP_4)
	v_dual_mul_f32 v158, 0xbf1a4643, v94 :: v_dual_add_f32 v85, v133, v85
	v_mul_f32_e32 v146, 0x3f6eb680, v82
	v_add_f32_e32 v90, v152, v90
	v_mul_f32_e32 v152, 0x3dbcf732, v89
	v_sub_f32_e32 v129, v149, v129
	v_fmac_f32_e32 v176, 0xbf2c7751, v117
	v_mul_f32_e32 v117, 0x3f3d2fb0, v89
	v_mul_f32_e32 v89, 0xbf7ba420, v89
	v_add_f32_e32 v85, v85, v5
	v_add_f32_e32 v129, v129, v4
	v_mul_f32_e32 v149, 0x3f3d2fb0, v103
	v_mul_f32_e32 v133, 0x3ee437d1, v94
	v_add_f32_e32 v89, v135, v89
	v_add_f32_e32 v98, v172, v5
	v_fmac_f32_e32 v174, 0xbf06c442, v108
	v_mul_f32_e32 v135, 0xbf1a4643, v93
	v_add_f32_e32 v57, v57, v147
	s_delay_alu instid0(VALU_DEP_4) | instskip(SKIP_3) | instid1(VALU_DEP_4)
	v_dual_add_f32 v85, v89, v85 :: v_dual_add_f32 v98, v171, v98
	v_mul_f32_e32 v108, 0x3f3d2fb0, v82
	v_fma_f32 v82, 0xbf1a4643, v82, -v165
	v_mul_f32_e32 v89, 0xbf7ba420, v93
	v_dual_mul_f32 v93, 0xbe8c1d8e, v93 :: v_dual_add_f32 v98, v173, v98
	v_sub_f32_e32 v128, v155, v128
	s_delay_alu instid0(VALU_DEP_4) | instskip(NEXT) | instid1(VALU_DEP_3)
	v_dual_add_f32 v82, v82, v4 :: v_dual_mul_f32 v155, 0xbf1a4643, v107
	v_sub_f32_e32 v93, v93, v130
	s_delay_alu instid0(VALU_DEP_4) | instskip(NEXT) | instid1(VALU_DEP_3)
	v_dual_add_f32 v98, v174, v98 :: v_dual_sub_f32 v79, v89, v79
	v_add_f32_e32 v82, v88, v82
	v_mul_f32_e32 v88, 0xbe8c1d8e, v94
	v_add_f32_e32 v128, v128, v129
	s_delay_alu instid0(VALU_DEP_4) | instskip(NEXT) | instid1(VALU_DEP_4)
	v_dual_add_f32 v98, v175, v98 :: v_dual_mul_f32 v129, 0x3f3d2fb0, v113
	v_add_f32_e32 v82, v159, v82
	s_delay_alu instid0(VALU_DEP_4) | instskip(SKIP_1) | instid1(VALU_DEP_4)
	v_add_f32_e32 v88, v134, v88
	v_mul_f32_e32 v134, 0x3f6eb680, v100
	v_dual_add_f32 v98, v176, v98 :: v_dual_add_f32 v93, v93, v128
	s_delay_alu instid0(VALU_DEP_4) | instskip(NEXT) | instid1(VALU_DEP_4)
	v_add_f32_e32 v82, v160, v82
	v_add_f32_e32 v85, v88, v85
	s_delay_alu instid0(VALU_DEP_4) | instskip(SKIP_1) | instid1(VALU_DEP_4)
	v_add_f32_e32 v134, v136, v134
	v_mul_f32_e32 v136, 0x3ee437d1, v105
	v_dual_mul_f32 v159, 0x3dbcf732, v99 :: v_dual_add_f32 v82, v161, v82
	v_mul_f32_e32 v161, 0xbf59a7d5, v107
	s_delay_alu instid0(VALU_DEP_3)
	v_dual_add_f32 v85, v134, v85 :: v_dual_add_f32 v136, v137, v136
	v_mul_f32_e32 v165, 0xbe8c1d8e, v106
	v_mul_f32_e32 v160, 0xbf7ba420, v99
	;; [unrolled: 1-line block ×4, first 2 shown]
	v_dual_add_f32 v85, v136, v85 :: v_dual_add_f32 v104, v206, v104
	v_add_f32_e32 v138, v138, v161
	v_add_f32_e32 v98, v177, v98
	s_delay_alu instid0(VALU_DEP_4) | instskip(SKIP_1) | instid1(VALU_DEP_4)
	v_dual_mul_f32 v88, 0x3dbcf732, v100 :: v_dual_sub_f32 v99, v99, v131
	v_mul_f32_e32 v131, 0x3ee437d1, v110
	v_dual_add_f32 v85, v138, v85 :: v_dual_fmac_f32 v178, 0x3f7ee86f, v122
	v_sub_f32_e32 v71, v154, v71
	v_mul_f32_e32 v122, 0xbf59a7d5, v103
	v_sub_f32_e32 v150, v150, v62
	v_mul_f32_e32 v136, 0xbe8c1d8e, v103
	v_mul_f32_e32 v103, 0x3ee437d1, v103
	v_dual_mul_f32 v134, 0xbf7ba420, v100 :: v_dual_add_f32 v93, v99, v93
	v_mul_f32_e32 v138, 0xbf1a4643, v111
	v_mul_f32_e32 v99, 0xbf7ba420, v112
	s_delay_alu instid0(VALU_DEP_4) | instskip(SKIP_2) | instid1(VALU_DEP_3)
	v_dual_sub_f32 v103, v103, v127 :: v_dual_mul_f32 v100, 0xbe8c1d8e, v100
	v_dual_add_f32 v82, v162, v82 :: v_dual_mul_f32 v127, 0xbf7ba420, v113
	v_dual_mul_f32 v94, 0xbf7ba420, v94 :: v_dual_add_f32 v129, v140, v129
	v_add_f32_e32 v93, v103, v93
	v_dual_add_f32 v103, v150, v4 :: v_dual_mul_f32 v162, 0xbf59a7d5, v105
	v_add_f32_e32 v138, v139, v138
	v_add_f32_e32 v164, v164, v82
	v_dual_mul_f32 v128, 0xbf59a7d5, v111 :: v_dual_add_f32 v61, v61, v152
	s_delay_alu instid0(VALU_DEP_4) | instskip(SKIP_3) | instid1(VALU_DEP_4)
	v_add_f32_e32 v71, v71, v103
	v_dual_add_f32 v94, v119, v94 :: v_dual_mul_f32 v119, 0x3f6eb680, v113
	v_add_f32_e32 v82, v138, v85
	v_dual_mul_f32 v138, 0xbf59a7d5, v110 :: v_dual_add_f32 v57, v57, v5
	v_add_f32_e32 v71, v79, v71
	v_sub_f32_e32 v79, v137, v86
	v_add_f32_e32 v70, v70, v114
	v_dual_mul_f32 v139, 0xbf1a4643, v106 :: v_dual_add_f32 v120, v120, v124
	v_add_f32_e32 v57, v61, v57
	s_delay_alu instid0(VALU_DEP_3) | instskip(SKIP_4) | instid1(VALU_DEP_4)
	v_dual_add_f32 v71, v79, v71 :: v_dual_add_f32 v70, v70, v5
	v_dual_add_f32 v61, v67, v158 :: v_dual_mul_f32 v114, 0x3ee437d1, v111
	v_sub_f32_e32 v79, v149, v92
	v_mul_f32_e32 v140, 0x3f6eb680, v112
	v_dual_mul_f32 v166, 0xbf59a7d5, v112 :: v_dual_mul_f32 v113, 0xbf59a7d5, v113
	v_dual_add_f32 v120, v120, v70 :: v_dual_add_f32 v57, v61, v57
	v_add_f32_e32 v61, v75, v134
	v_mul_f32_e32 v161, 0xbe8c1d8e, v105
	v_mul_f32_e32 v105, 0x3f3d2fb0, v105
	v_dual_mul_f32 v124, 0x3dbcf732, v110 :: v_dual_add_f32 v67, v79, v71
	v_add_f32_e32 v62, v178, v104
	v_dual_add_f32 v70, v156, v98 :: v_dual_add_f32 v79, v123, v113
	v_dual_add_f32 v57, v61, v57 :: v_dual_add_f32 v94, v94, v120
	v_sub_f32_e32 v63, v135, v63
	v_dual_add_f32 v61, v81, v162 :: v_dual_add_f32 v98, v115, v100
	v_mul_f32_e32 v85, 0xbe8c1d8e, v107
	v_dual_mul_f32 v107, 0x3f6eb680, v107 :: v_dual_mul_f32 v130, 0x3f6eb680, v106
	s_delay_alu instid0(VALU_DEP_3) | instskip(NEXT) | instid1(VALU_DEP_3)
	v_dual_add_f32 v61, v61, v57 :: v_dual_add_f32 v94, v98, v94
	v_add_f32_e32 v75, v87, v85
	v_dual_add_f32 v98, v116, v105 :: v_dual_mul_f32 v111, 0x3dbcf732, v111
	v_mul_f32_e32 v106, 0xbf59a7d5, v106
	v_sub_f32_e32 v54, v108, v54
	v_mul_f32_e32 v110, 0xbf1a4643, v110
	s_delay_alu instid0(VALU_DEP_4) | instskip(SKIP_1) | instid1(VALU_DEP_4)
	v_add_f32_e32 v89, v98, v94
	v_dual_add_f32 v94, v118, v107 :: v_dual_add_f32 v61, v75, v61
	v_add_f32_e32 v54, v54, v4
	v_mul_f32_e32 v112, 0x3f3d2fb0, v112
	v_add_f32_e32 v82, v129, v82
	s_delay_alu instid0(VALU_DEP_4) | instskip(SKIP_4) | instid1(VALU_DEP_4)
	v_dual_add_f32 v86, v94, v89 :: v_dual_add_f32 v89, v121, v111
	v_sub_f32_e32 v100, v106, v125
	v_dual_add_f32 v54, v58, v54 :: v_dual_sub_f32 v23, v131, v83
	v_add_f32_e32 v17, v65, v155
	v_sub_f32_e32 v13, v139, v64
	v_dual_add_f32 v93, v100, v93 :: v_dual_sub_f32 v100, v110, v126
	s_delay_alu instid0(VALU_DEP_4) | instskip(NEXT) | instid1(VALU_DEP_2)
	v_dual_add_f32 v54, v63, v54 :: v_dual_sub_f32 v63, v160, v68
	v_add_f32_e32 v93, v100, v93
	s_delay_alu instid0(VALU_DEP_2) | instskip(SKIP_1) | instid1(VALU_DEP_2)
	v_dual_sub_f32 v71, v130, v101 :: v_dual_add_f32 v54, v63, v54
	v_sub_f32_e32 v63, v122, v66
	v_dual_add_f32 v6, v6, v4 :: v_dual_add_f32 v67, v71, v67
	v_sub_f32_e32 v71, v124, v102
	s_delay_alu instid0(VALU_DEP_3) | instskip(NEXT) | instid1(VALU_DEP_3)
	v_dual_add_f32 v21, v63, v54 :: v_dual_sub_f32 v92, v112, v132
	v_add_f32_e32 v6, v20, v6
	s_delay_alu instid0(VALU_DEP_3) | instskip(SKIP_1) | instid1(VALU_DEP_4)
	v_dual_sub_f32 v54, v165, v77 :: v_dual_add_f32 v67, v71, v67
	v_dual_sub_f32 v71, v166, v109 :: v_dual_add_f32 v20, v91, v119
	v_add_f32_e32 v81, v92, v93
	s_delay_alu instid0(VALU_DEP_3) | instskip(NEXT) | instid1(VALU_DEP_3)
	v_add_f32_e32 v21, v54, v21
	v_dual_add_f32 v22, v22, v6 :: v_dual_add_f32 v57, v71, v67
	v_add_f32_e32 v67, v97, v114
	s_delay_alu instid0(VALU_DEP_3) | instskip(NEXT) | instid1(VALU_DEP_3)
	v_dual_add_f32 v86, v89, v86 :: v_dual_add_f32 v21, v23, v21
	v_dual_add_f32 v22, v28, v22 :: v_dual_sub_f32 v23, v146, v44
	s_delay_alu instid0(VALU_DEP_1) | instskip(NEXT) | instid1(VALU_DEP_2)
	v_dual_add_f32 v61, v67, v61 :: v_dual_add_f32 v22, v30, v22
	v_add_f32_e32 v4, v23, v4
	s_delay_alu instid0(VALU_DEP_2) | instskip(SKIP_3) | instid1(VALU_DEP_3)
	v_add_f32_e32 v6, v20, v61
	v_dual_add_f32 v20, v45, v148 :: v_dual_sub_f32 v23, v151, v46
	v_add_f32_e32 v58, v79, v86
	v_add_f32_e32 v61, v145, v90
	;; [unrolled: 1-line block ×5, first 2 shown]
	v_sub_f32_e32 v23, v157, v48
	s_delay_alu instid0(VALU_DEP_3) | instskip(SKIP_2) | instid1(VALU_DEP_4)
	v_add_f32_e32 v5, v20, v5
	v_add_f32_e32 v20, v32, v22
	;; [unrolled: 1-line block ×4, first 2 shown]
	v_sub_f32_e32 v23, v159, v55
	s_delay_alu instid0(VALU_DEP_3) | instskip(NEXT) | instid1(VALU_DEP_1)
	v_dual_add_f32 v5, v22, v5 :: v_dual_add_f32 v22, v56, v88
	v_add_f32_e32 v5, v22, v5
	v_add_f32_e32 v20, v34, v20
	;; [unrolled: 1-line block ×3, first 2 shown]
	s_delay_alu instid0(VALU_DEP_1) | instskip(NEXT) | instid1(VALU_DEP_1)
	v_dual_add_f32 v20, v24, v20 :: v_dual_add_f32 v5, v22, v5
	v_dual_add_f32 v20, v26, v20 :: v_dual_add_f32 v5, v17, v5
	v_add_f32_e32 v17, v76, v128
	s_delay_alu instid0(VALU_DEP_2) | instskip(SKIP_1) | instid1(VALU_DEP_2)
	v_add_f32_e32 v16, v16, v20
	v_sub_f32_e32 v20, v136, v59
	v_add_f32_e32 v16, v18, v16
	s_delay_alu instid0(VALU_DEP_1) | instskip(SKIP_1) | instid1(VALU_DEP_2)
	v_add_f32_e32 v12, v12, v16
	v_sub_f32_e32 v16, v140, v84
	v_add_f32_e32 v12, v14, v12
	s_delay_alu instid0(VALU_DEP_1) | instskip(SKIP_3) | instid1(VALU_DEP_2)
	v_add_f32_e32 v8, v8, v12
	v_dual_sub_f32 v12, v99, v78 :: v_dual_add_f32 v5, v17, v5
	v_add_f32_e32 v4, v23, v4
	v_add_f32_e32 v14, v80, v127
	;; [unrolled: 1-line block ×3, first 2 shown]
	s_delay_alu instid0(VALU_DEP_1) | instskip(SKIP_1) | instid1(VALU_DEP_2)
	v_dual_add_f32 v4, v13, v4 :: v_dual_sub_f32 v13, v138, v69
	v_add_f32_e32 v69, v163, v164
	v_add_f32_e32 v4, v13, v4
	;; [unrolled: 1-line block ×4, first 2 shown]
	v_dual_add_f32 v10, v37, v11 :: v_dual_add_f32 v5, v16, v21
	s_delay_alu instid0(VALU_DEP_4) | instskip(NEXT) | instid1(VALU_DEP_4)
	v_add_f32_e32 v7, v12, v4
	v_dual_add_f32 v9, v36, v13 :: v_dual_lshlrev_b32 v4, 3, v15
	ds_store_2addr_b64 v4, v[9:10], v[7:8] offset1:1
	ds_store_2addr_b64 v4, v[5:6], v[57:58] offset0:2 offset1:3
	ds_store_2addr_b64 v4, v[81:82], v[143:144] offset0:4 offset1:5
	;; [unrolled: 1-line block ×7, first 2 shown]
	ds_store_b64 v4, v[73:74] offset:128
.LBB0_7:
	s_wait_alu 0xfffe
	s_or_b32 exec_lo, exec_lo, s0
	v_and_b32_e32 v4, 0xff, v96
	v_add_co_u32 v6, null, 0xee, v96
	v_add_co_u32 v7, null, 0x165, v96
	s_delay_alu instid0(VALU_DEP_3) | instskip(NEXT) | instid1(VALU_DEP_3)
	v_mul_lo_u16 v4, 0xf1, v4
	v_and_b32_e32 v12, 0xffff, v6
	v_add_co_u32 v8, null, 0x1dc, v96
	v_add_co_u32 v9, null, 0x253, v96
	s_delay_alu instid0(VALU_DEP_4)
	v_lshrrev_b16 v11, 12, v4
	v_add_nc_u16 v4, v96, 0x77
	s_load_b128 s[4:7], s[4:5], 0x0
	global_wb scope:SCOPE_SE
	s_wait_dscnt 0x0
	s_wait_kmcnt 0x0
	s_barrier_signal -1
	v_mul_lo_u16 v5, v11, 17
	v_and_b32_e32 v10, 0xff, v4
	s_barrier_wait -1
	global_inv scope:SCOPE_SE
	v_and_b32_e32 v15, 0xffff, v8
	v_sub_nc_u16 v13, v96, v5
	v_mul_lo_u16 v5, 0xf1, v10
	v_mul_u32_u24_e32 v10, 0xf0f1, v12
	v_and_b32_e32 v12, 0xffff, v9
	v_mul_lo_u16 v20, v11, 34
	v_and_b32_e32 v31, 0xff, v13
	v_lshrrev_b16 v19, 12, v5
	v_lshrrev_b32_e32 v32, 20, v10
	v_mul_u32_u24_e32 v12, 0xf0f1, v12
	v_and_b32_e32 v44, 0xfe, v20
	v_lshlrev_b32_e32 v10, 3, v31
	v_cmp_gt_u16_e64 s0, 0x55, v96
	s_delay_alu instid0(VALU_DEP_4) | instskip(NEXT) | instid1(VALU_DEP_4)
	v_lshrrev_b32_e32 v35, 20, v12
	v_add_lshl_u32 v102, v44, v31, 3
	global_load_b64 v[79:80], v10, s[2:3]
	v_and_b32_e32 v14, 0xffff, v7
	s_delay_alu instid0(VALU_DEP_1) | instskip(SKIP_2) | instid1(VALU_DEP_3)
	v_mul_u32_u24_e32 v13, 0xf0f1, v14
	v_mul_u32_u24_e32 v14, 0xf0f1, v15
	v_mul_lo_u16 v15, v19, 17
	v_lshrrev_b32_e32 v33, 20, v13
	v_mul_lo_u16 v13, v32, 17
	s_delay_alu instid0(VALU_DEP_4) | instskip(NEXT) | instid1(VALU_DEP_4)
	v_lshrrev_b32_e32 v34, 20, v14
	v_sub_nc_u16 v12, v4, v15
	s_delay_alu instid0(VALU_DEP_4) | instskip(NEXT) | instid1(VALU_DEP_4)
	v_mul_lo_u16 v14, v33, 17
	v_sub_nc_u16 v36, v6, v13
	s_delay_alu instid0(VALU_DEP_4) | instskip(NEXT) | instid1(VALU_DEP_4)
	v_mul_lo_u16 v6, v34, 17
	v_and_b32_e32 v37, 0xff, v12
	v_mul_lo_u16 v13, v35, 17
	v_sub_nc_u16 v38, v7, v14
	v_and_b32_e32 v7, 0xffff, v36
	v_sub_nc_u16 v39, v8, v6
	v_lshlrev_b32_e32 v8, 3, v37
	v_sub_nc_u16 v40, v9, v13
	v_and_b32_e32 v6, 0xffff, v38
	v_lshlrev_b32_e32 v7, 3, v7
	v_and_b32_e32 v9, 0xffff, v39
	global_load_b64 v[81:82], v8, s[2:3]
	v_mad_u16 v31, v32, 34, v36
	v_lshlrev_b32_e32 v6, 3, v6
	global_load_b64 v[83:84], v7, s[2:3]
	v_and_b32_e32 v10, 0xffff, v40
	v_lshlrev_b32_e32 v8, 3, v9
	v_mad_u16 v32, v33, 34, v38
	v_mad_u16 v33, v34, 34, v39
	;; [unrolled: 1-line block ×3, first 2 shown]
	v_lshlrev_b32_e32 v7, 3, v10
	s_clause 0x2
	global_load_b64 v[85:86], v6, s[2:3]
	global_load_b64 v[77:78], v8, s[2:3]
	;; [unrolled: 1-line block ×3, first 2 shown]
	v_and_b32_e32 v6, 0xffff, v96
	v_and_b32_e32 v43, 0xffff, v19
	;; [unrolled: 1-line block ×4, first 2 shown]
	s_delay_alu instid0(VALU_DEP_4) | instskip(NEXT) | instid1(VALU_DEP_3)
	v_lshlrev_b32_e32 v97, 3, v6
	v_lshlrev_b32_e32 v100, 3, v34
	s_delay_alu instid0(VALU_DEP_3) | instskip(NEXT) | instid1(VALU_DEP_3)
	v_lshlrev_b32_e32 v104, 3, v32
	v_add_nc_u32_e32 v12, 0x1400, v97
	v_add_nc_u32_e32 v15, 0x400, v97
	ds_load_2addr_b64 v[7:10], v97 offset1:119
	ds_load_2addr_b64 v[11:14], v12 offset0:74 offset1:193
	ds_load_2addr_b64 v[15:18], v15 offset0:110 offset1:229
	v_and_b32_e32 v31, 0xffff, v31
	s_delay_alu instid0(VALU_DEP_1) | instskip(SKIP_3) | instid1(VALU_DEP_2)
	v_lshlrev_b32_e32 v105, 3, v31
	s_wait_loadcnt_dscnt 0x501
	v_mul_f32_e32 v31, v12, v80
	v_mul_f32_e32 v35, v11, v80
	v_fma_f32 v11, v11, v79, -v31
	s_delay_alu instid0(VALU_DEP_2) | instskip(NEXT) | instid1(VALU_DEP_2)
	v_fmac_f32_e32 v35, v12, v79
	v_sub_f32_e32 v11, v7, v11
	s_delay_alu instid0(VALU_DEP_1) | instskip(SKIP_3) | instid1(VALU_DEP_2)
	v_fma_f32 v7, v7, 2.0, -v11
	s_wait_loadcnt 0x4
	v_mul_f32_e32 v12, v14, v82
	v_mul_f32_e32 v31, v13, v82
	v_fma_f32 v13, v13, v81, -v12
	s_delay_alu instid0(VALU_DEP_2) | instskip(SKIP_2) | instid1(VALU_DEP_3)
	v_dual_fmac_f32 v31, v14, v81 :: v_dual_sub_f32 v12, v8, v35
	v_add_nc_u32_e32 v6, 0x1c00, v97
	v_add_nc_u32_e32 v41, 0xc00, v97
	v_dual_sub_f32 v14, v10, v31 :: v_dual_add_nc_u32 v27, 0x2400, v97
	ds_load_2addr_b64 v[19:22], v6 offset0:56 offset1:175
	ds_load_2addr_b64 v[23:26], v41 offset0:92 offset1:211
	;; [unrolled: 1-line block ×3, first 2 shown]
	v_sub_f32_e32 v13, v9, v13
	v_fma_f32 v8, v8, 2.0, -v12
	v_fma_f32 v10, v10, 2.0, -v14
	global_wb scope:SCOPE_SE
	s_wait_loadcnt_dscnt 0x0
	s_barrier_signal -1
	v_fma_f32 v9, v9, 2.0, -v13
	s_barrier_wait -1
	global_inv scope:SCOPE_SE
	v_mul_f32_e32 v34, v22, v86
	v_mul_f32_e32 v36, v21, v86
	v_dual_mul_f32 v38, v27, v78 :: v_dual_mul_f32 v39, v30, v76
	v_mul_f32_e32 v32, v20, v84
	v_mul_f32_e32 v40, v29, v76
	s_delay_alu instid0(VALU_DEP_4) | instskip(NEXT) | instid1(VALU_DEP_4)
	v_fmac_f32_e32 v36, v22, v85
	v_fmac_f32_e32 v38, v28, v77
	v_mul_u32_u24_e32 v43, 34, v43
	v_fma_f32 v21, v21, v85, -v34
	v_fmac_f32_e32 v40, v30, v75
	v_add_nc_u32_e32 v42, 0x1800, v97
	s_delay_alu instid0(VALU_DEP_4) | instskip(SKIP_1) | instid1(VALU_DEP_4)
	v_add_lshl_u32 v103, v43, v37, 3
	v_mul_f32_e32 v37, v28, v78
	v_dual_sub_f32 v49, v26, v40 :: v_dual_sub_f32 v28, v17, v21
	s_delay_alu instid0(VALU_DEP_2)
	v_fma_f32 v22, v27, v77, -v37
	v_fma_f32 v27, v29, v75, -v39
	v_and_b32_e32 v33, 0xffff, v33
	v_sub_f32_e32 v29, v18, v36
	v_sub_f32_e32 v37, v24, v38
	;; [unrolled: 1-line block ×3, first 2 shown]
	s_delay_alu instid0(VALU_DEP_4)
	v_dual_sub_f32 v48, v25, v27 :: v_dual_lshlrev_b32 v101, 3, v33
	v_mul_f32_e32 v33, v19, v84
	v_fma_f32 v19, v19, v83, -v32
	v_fma_f32 v17, v17, 2.0, -v28
	v_fma_f32 v18, v18, 2.0, -v29
	;; [unrolled: 1-line block ×3, first 2 shown]
	v_fmac_f32_e32 v33, v20, v83
	v_sub_f32_e32 v19, v15, v19
	v_fma_f32 v31, v24, 2.0, -v37
	v_fma_f32 v38, v25, 2.0, -v48
	;; [unrolled: 1-line block ×3, first 2 shown]
	v_sub_f32_e32 v20, v16, v33
	v_fma_f32 v15, v15, 2.0, -v19
	s_delay_alu instid0(VALU_DEP_2)
	v_fma_f32 v16, v16, 2.0, -v20
	ds_store_2addr_b64 v102, v[7:8], v[11:12] offset1:17
	ds_store_2addr_b64 v103, v[9:10], v[13:14] offset1:17
	;; [unrolled: 1-line block ×6, first 2 shown]
	global_wb scope:SCOPE_SE
	s_wait_dscnt 0x0
	s_barrier_signal -1
	s_barrier_wait -1
	global_inv scope:SCOPE_SE
	ds_load_2addr_b64 v[32:35], v97 offset1:204
	ds_load_2addr_b64 v[44:47], v41 offset0:24 offset1:228
	ds_load_2addr_b64 v[40:43], v42 offset0:48 offset1:252
	ds_load_b64 v[54:55], v97 offset:9792
	s_and_saveexec_b32 s1, s0
	s_cbranch_execz .LBB0_9
; %bb.8:
	v_add_nc_u32_e32 v7, 0x300, v97
	ds_load_2addr_b64 v[48:51], v6 offset0:39 offset1:243
	v_add_nc_u32_e32 v6, 0x1000, v97
	ds_load_b64 v[52:53], v97 offset:10744
	ds_load_2addr_b64 v[28:31], v7 offset0:23 offset1:227
	ds_load_2addr_b64 v[36:39], v6 offset0:15 offset1:219
.LBB0_9:
	s_wait_alu 0xfffe
	s_or_b32 exec_lo, exec_lo, s1
	v_lshrrev_b16 v99, 13, v5
	v_and_b32_e32 v6, 0xff, v96
	s_delay_alu instid0(VALU_DEP_2) | instskip(NEXT) | instid1(VALU_DEP_1)
	v_mul_lo_u16 v5, v99, 34
	v_sub_nc_u16 v4, v4, v5
	s_delay_alu instid0(VALU_DEP_3) | instskip(NEXT) | instid1(VALU_DEP_2)
	v_mul_lo_u16 v5, 0xf1, v6
	v_and_b32_e32 v98, 0xff, v4
	s_delay_alu instid0(VALU_DEP_2) | instskip(NEXT) | instid1(VALU_DEP_2)
	v_lshrrev_b16 v56, 13, v5
	v_mad_co_u64_u32 v[12:13], null, v98, 48, s[2:3]
	s_delay_alu instid0(VALU_DEP_2) | instskip(NEXT) | instid1(VALU_DEP_1)
	v_mul_lo_u16 v4, v56, 34
	v_sub_nc_u16 v8, v96, v4
	global_load_b128 v[4:7], v[12:13], off offset:152
	v_and_b32_e32 v57, 0xff, v8
	global_load_b128 v[8:11], v[12:13], off offset:168
	s_wait_loadcnt_dscnt 0x103
	v_dual_mul_f32 v59, v48, v7 :: v_dual_and_b32 v56, 0xffff, v56
	s_wait_loadcnt 0x0
	v_mul_f32_e32 v61, v50, v9
	s_delay_alu instid0(VALU_DEP_2) | instskip(SKIP_2) | instid1(VALU_DEP_3)
	v_mul_u32_u24_e32 v56, 0xee, v56
	s_wait_dscnt 0x2
	v_dual_mul_f32 v60, v51, v9 :: v_dual_mul_f32 v63, v52, v11
	v_dual_mul_f32 v62, v53, v11 :: v_dual_fmac_f32 v61, v51, v8
	s_delay_alu instid0(VALU_DEP_3)
	v_add_lshl_u32 v106, v56, v57, 3
	s_wait_dscnt 0x0
	v_mul_f32_e32 v56, v39, v5
	v_mad_co_u64_u32 v[14:15], null, v57, 48, s[2:3]
	s_clause 0x3
	global_load_b128 v[24:27], v[14:15], off offset:136
	global_load_b128 v[20:23], v[14:15], off offset:152
	;; [unrolled: 1-line block ×4, first 2 shown]
	v_dual_mul_f32 v57, v38, v5 :: v_dual_mul_f32 v58, v49, v7
	v_fma_f32 v38, v38, v4, -v56
	v_fmac_f32_e32 v59, v49, v6
	v_fma_f32 v49, v52, v10, -v62
	s_delay_alu instid0(VALU_DEP_4)
	v_fmac_f32_e32 v57, v39, v4
	v_fma_f32 v39, v48, v6, -v58
	v_fma_f32 v48, v50, v8, -v60
	v_fmac_f32_e32 v63, v53, v10
	global_wb scope:SCOPE_SE
	s_wait_loadcnt 0x0
	s_barrier_signal -1
	v_dual_add_f32 v87, v38, v39 :: v_dual_sub_f32 v38, v39, v38
	s_barrier_wait -1
	global_inv scope:SCOPE_SE
	v_mul_f32_e32 v50, v35, v25
	v_dual_mul_f32 v51, v34, v25 :: v_dual_mul_f32 v52, v45, v27
	v_dual_mul_f32 v53, v44, v27 :: v_dual_mul_f32 v58, v46, v21
	v_mul_f32_e32 v56, v47, v21
	v_dual_mul_f32 v60, v41, v23 :: v_dual_mul_f32 v65, v42, v17
	v_dual_mul_f32 v62, v40, v23 :: v_dual_mul_f32 v69, v30, v13
	v_dual_mul_f32 v64, v43, v17 :: v_dual_mul_f32 v67, v54, v19
	v_dual_mul_f32 v66, v55, v19 :: v_dual_fmac_f32 v53, v45, v26
	v_dual_mul_f32 v68, v31, v13 :: v_dual_mul_f32 v71, v36, v15
	v_dual_mul_f32 v70, v37, v15 :: v_dual_sub_f32 v39, v59, v57
	v_dual_add_f32 v88, v57, v59 :: v_dual_fmac_f32 v51, v35, v24
	v_fma_f32 v34, v34, v24, -v50
	v_fma_f32 v35, v44, v26, -v52
	;; [unrolled: 1-line block ×4, first 2 shown]
	v_dual_fmac_f32 v62, v41, v22 :: v_dual_fmac_f32 v65, v43, v16
	v_fma_f32 v41, v42, v16, -v64
	v_fma_f32 v42, v54, v18, -v66
	s_delay_alu instid0(VALU_DEP_4)
	v_dual_fmac_f32 v67, v55, v18 :: v_dual_add_f32 v46, v44, v40
	v_dual_fmac_f32 v58, v47, v20 :: v_dual_fmac_f32 v71, v37, v14
	v_fma_f32 v30, v30, v12, -v68
	v_fmac_f32_e32 v69, v31, v12
	v_fma_f32 v31, v36, v14, -v70
	v_dual_add_f32 v36, v34, v42 :: v_dual_add_f32 v37, v51, v67
	v_sub_f32_e32 v42, v34, v42
	v_dual_add_f32 v34, v35, v41 :: v_dual_add_f32 v47, v58, v62
	v_dual_sub_f32 v43, v51, v67 :: v_dual_sub_f32 v40, v40, v44
	v_dual_add_f32 v45, v53, v65 :: v_dual_sub_f32 v44, v62, v58
	v_dual_sub_f32 v35, v35, v41 :: v_dual_sub_f32 v52, v69, v63
	v_sub_f32_e32 v41, v53, v65
	v_dual_add_f32 v50, v30, v49 :: v_dual_add_f32 v51, v69, v63
	v_dual_add_f32 v53, v31, v48 :: v_dual_sub_f32 v60, v46, v34
	v_add_f32_e32 v54, v71, v61
	v_sub_f32_e32 v48, v31, v48
	v_dual_sub_f32 v55, v71, v61 :: v_dual_add_f32 v56, v34, v36
	v_sub_f32_e32 v49, v30, v49
	v_dual_add_f32 v57, v45, v37 :: v_dual_sub_f32 v58, v34, v36
	v_dual_sub_f32 v59, v45, v37 :: v_dual_sub_f32 v36, v36, v46
	v_sub_f32_e32 v37, v37, v47
	v_dual_add_f32 v61, v40, v35 :: v_dual_sub_f32 v66, v35, v42
	v_dual_add_f32 v62, v44, v41 :: v_dual_sub_f32 v65, v42, v40
	v_dual_sub_f32 v63, v40, v35 :: v_dual_sub_f32 v30, v53, v50
	v_dual_sub_f32 v64, v44, v41 :: v_dual_sub_f32 v67, v41, v43
	v_dual_add_f32 v41, v54, v51 :: v_dual_sub_f32 v34, v87, v53
	v_dual_sub_f32 v31, v54, v51 :: v_dual_sub_f32 v70, v49, v38
	v_dual_sub_f32 v35, v88, v54 :: v_dual_add_f32 v54, v39, v55
	v_dual_sub_f32 v68, v38, v48 :: v_dual_sub_f32 v69, v39, v55
	v_dual_add_f32 v46, v46, v56 :: v_dual_sub_f32 v45, v47, v45
	v_add_f32_e32 v40, v53, v50
	v_sub_f32_e32 v44, v43, v44
	v_dual_sub_f32 v50, v50, v87 :: v_dual_sub_f32 v51, v51, v88
	v_dual_add_f32 v53, v38, v48 :: v_dual_sub_f32 v38, v48, v49
	v_dual_add_f32 v47, v47, v57 :: v_dual_add_f32 v56, v61, v42
	v_add_f32_e32 v57, v62, v43
	v_dual_mul_f32 v43, 0x3f4a47b2, v36 :: v_dual_add_f32 v88, v88, v41
	v_mul_f32_e32 v61, 0x3f4a47b2, v37
	v_dual_add_f32 v41, v54, v52 :: v_dual_mul_f32 v36, 0xbf08b237, v69
	v_dual_mul_f32 v37, 0xbf08b237, v68 :: v_dual_add_f32 v54, v32, v46
	v_dual_sub_f32 v39, v52, v39 :: v_dual_sub_f32 v48, v55, v52
	v_dual_mul_f32 v62, 0x3d64c772, v60 :: v_dual_mul_f32 v71, 0x3d64c772, v45
	v_dual_mul_f32 v63, 0xbf08b237, v63 :: v_dual_mul_f32 v64, 0xbf08b237, v64
	;; [unrolled: 1-line block ×3, first 2 shown]
	v_dual_add_f32 v87, v87, v40 :: v_dual_add_f32 v40, v53, v49
	v_dual_mul_f32 v49, 0x3f4a47b2, v50 :: v_dual_mul_f32 v50, 0x3f4a47b2, v51
	v_dual_mul_f32 v42, 0x3f5ff5aa, v38 :: v_dual_add_f32 v55, v33, v47
	v_fmamk_f32 v51, v60, 0x3d64c772, v43
	v_fmamk_f32 v46, v46, 0xbf955555, v54
	v_fma_f32 v52, 0x3f3bfb3b, v58, -v62
	v_fma_f32 v58, 0xbf3bfb3b, v58, -v43
	v_fmamk_f32 v47, v47, 0xbf955555, v55
	v_dual_fmamk_f32 v68, v65, 0x3eae86e6, v63 :: v_dual_fmamk_f32 v69, v44, 0x3eae86e6, v64
	v_fma_f32 v62, 0x3f5ff5aa, v67, -v64
	v_fma_f32 v65, 0xbeae86e6, v65, -v89
	;; [unrolled: 1-line block ×3, first 2 shown]
	v_dual_add_f32 v28, v28, v87 :: v_dual_add_f32 v29, v29, v88
	v_fmamk_f32 v32, v70, 0x3eae86e6, v37
	v_dual_fmamk_f32 v64, v35, 0x3d64c772, v50 :: v_dual_fmamk_f32 v45, v45, 0x3d64c772, v61
	v_fma_f32 v43, 0xbeae86e6, v70, -v42
	v_add_f32_e32 v70, v51, v46
	v_mul_f32_e32 v38, 0x3f5ff5aa, v48
	v_fma_f32 v60, 0x3f3bfb3b, v59, -v71
	v_add_f32_e32 v45, v45, v47
	v_fma_f32 v59, 0xbf3bfb3b, v59, -v61
	v_fma_f32 v63, 0x3f5ff5aa, v66, -v63
	;; [unrolled: 1-line block ×4, first 2 shown]
	v_fmamk_f32 v33, v39, 0x3eae86e6, v36
	v_fma_f32 v39, 0xbeae86e6, v39, -v38
	v_dual_fmac_f32 v65, 0x3ee1c552, v56 :: v_dual_fmac_f32 v44, 0x3ee1c552, v57
	v_dual_fmamk_f32 v48, v87, 0xbf955555, v28 :: v_dual_fmamk_f32 v53, v88, 0xbf955555, v29
	v_fmamk_f32 v61, v34, 0x3d64c772, v49
	v_add_f32_e32 v71, v52, v46
	v_add_f32_e32 v46, v58, v46
	v_dual_fmac_f32 v68, 0x3ee1c552, v56 :: v_dual_fmac_f32 v69, 0x3ee1c552, v57
	v_dual_fmac_f32 v63, 0x3ee1c552, v56 :: v_dual_fmac_f32 v62, 0x3ee1c552, v57
	;; [unrolled: 1-line block ×3, first 2 shown]
	s_delay_alu instid0(VALU_DEP_3)
	v_dual_fmac_f32 v43, 0x3ee1c552, v40 :: v_dual_add_f32 v56, v69, v70
	v_dual_fmac_f32 v39, 0x3ee1c552, v41 :: v_dual_add_f32 v50, v66, v48
	v_add_f32_e32 v51, v64, v53
	v_add_f32_e32 v52, v67, v53
	v_dual_sub_f32 v64, v46, v44 :: v_dual_add_f32 v87, v60, v47
	v_sub_f32_e32 v60, v71, v62
	v_dual_add_f32 v47, v59, v47 :: v_dual_add_f32 v58, v44, v46
	v_dual_add_f32 v49, v61, v48 :: v_dual_add_f32 v62, v62, v71
	v_dual_sub_f32 v57, v45, v68 :: v_dual_sub_f32 v66, v70, v69
	s_delay_alu instid0(VALU_DEP_3) | instskip(NEXT) | instid1(VALU_DEP_3)
	v_sub_f32_e32 v59, v47, v65
	v_dual_add_f32 v61, v63, v87 :: v_dual_sub_f32 v46, v49, v33
	v_add_f32_e32 v65, v65, v47
	v_dual_add_f32 v67, v68, v45 :: v_dual_sub_f32 v44, v50, v39
	v_add_f32_e32 v45, v43, v52
	v_add_f32_e32 v47, v32, v51
	v_sub_f32_e32 v63, v87, v63
	ds_store_2addr_b64 v106, v[54:55], v[56:57] offset1:34
	ds_store_2addr_b64 v106, v[58:59], v[60:61] offset0:68 offset1:102
	ds_store_2addr_b64 v106, v[62:63], v[64:65] offset0:136 offset1:170
	ds_store_b64 v106, v[66:67] offset:1632
	s_and_saveexec_b32 s1, s0
	s_cbranch_execz .LBB0_11
; %bb.10:
	v_dual_mul_f32 v35, 0x3d64c772, v35 :: v_dual_mul_f32 v34, 0x3d64c772, v34
	v_dual_mul_f32 v31, 0x3f3bfb3b, v31 :: v_dual_mul_f32 v30, 0x3f3bfb3b, v30
	;; [unrolled: 1-line block ×3, first 2 shown]
	s_delay_alu instid0(VALU_DEP_2) | instskip(SKIP_1) | instid1(VALU_DEP_2)
	v_dual_sub_f32 v36, v38, v36 :: v_dual_sub_f32 v31, v31, v35
	v_sub_f32_e32 v35, v42, v37
	v_dual_sub_f32 v37, v52, v43 :: v_dual_add_f32 v38, v41, v36
	s_delay_alu instid0(VALU_DEP_2) | instskip(NEXT) | instid1(VALU_DEP_4)
	v_dual_sub_f32 v30, v30, v34 :: v_dual_add_f32 v35, v40, v35
	v_add_f32_e32 v34, v31, v53
	v_and_b32_e32 v36, 0xffff, v99
	v_add_f32_e32 v40, v33, v49
	s_delay_alu instid0(VALU_DEP_4)
	v_add_f32_e32 v30, v30, v48
	v_sub_f32_e32 v41, v51, v32
	v_sub_f32_e32 v31, v34, v35
	v_add_f32_e32 v35, v35, v34
	v_mul_u32_u24_e32 v36, 0xee, v36
	v_sub_f32_e32 v34, v30, v38
	v_add_f32_e32 v30, v38, v30
	s_delay_alu instid0(VALU_DEP_3)
	v_add_lshl_u32 v32, v36, v98, 3
	v_add_f32_e32 v36, v39, v50
	ds_store_2addr_b64 v32, v[28:29], v[40:41] offset1:34
	ds_store_2addr_b64 v32, v[36:37], v[34:35] offset0:68 offset1:102
	ds_store_2addr_b64 v32, v[30:31], v[44:45] offset0:136 offset1:170
	ds_store_b64 v32, v[46:47] offset:1632
.LBB0_11:
	s_wait_alu 0xfffe
	s_or_b32 exec_lo, exec_lo, s1
	v_mad_co_u64_u32 v[48:49], null, v96, 40, s[2:3]
	global_wb scope:SCOPE_SE
	s_wait_dscnt 0x0
	s_barrier_signal -1
	s_barrier_wait -1
	global_inv scope:SCOPE_SE
	s_clause 0x5
	global_load_b128 v[36:39], v[48:49], off offset:1768
	global_load_b128 v[32:35], v[48:49], off offset:1784
	global_load_b64 v[89:90], v[48:49], off offset:1800
	global_load_b128 v[40:43], v[48:49], off offset:6528
	global_load_b128 v[28:31], v[48:49], off offset:6544
	global_load_b64 v[87:88], v[48:49], off offset:6560
	v_add_nc_u32_e32 v108, 0xc00, v97
	v_add_nc_u32_e32 v109, 0x1400, v97
	;; [unrolled: 1-line block ×4, first 2 shown]
	ds_load_2addr_b64 v[52:55], v108 offset0:92 offset1:211
	s_wait_loadcnt_dscnt 0x500
	v_dual_mul_f32 v70, v53, v39 :: v_dual_add_nc_u32 v107, 0x400, v97
	ds_load_2addr_b64 v[48:51], v107 offset0:110 offset1:229
	ds_load_2addr_b64 v[56:59], v109 offset0:74 offset1:193
	;; [unrolled: 1-line block ×4, first 2 shown]
	ds_load_2addr_b64 v[91:94], v97 offset1:119
	v_mul_f32_e32 v71, v52, v39
	s_wait_loadcnt 0x2
	v_mul_f32_e32 v121, v54, v43
	s_wait_dscnt 0x3
	v_dual_mul_f32 v120, v55, v43 :: v_dual_mul_f32 v113, v56, v33
	s_wait_loadcnt_dscnt 0x102
	v_mul_f32_e32 v124, v63, v31
	s_wait_dscnt 0x1
	v_dual_mul_f32 v68, v49, v37 :: v_dual_mul_f32 v117, v64, v90
	v_dual_mul_f32 v69, v48, v37 :: v_dual_mul_f32 v114, v61, v35
	;; [unrolled: 1-line block ×3, first 2 shown]
	s_wait_loadcnt 0x0
	v_dual_mul_f32 v119, v50, v41 :: v_dual_mul_f32 v126, v67, v88
	v_dual_mul_f32 v122, v59, v29 :: v_dual_mul_f32 v127, v66, v88
	v_mul_f32_e32 v112, v57, v33
	v_mul_f32_e32 v116, v65, v90
	v_fma_f32 v68, v48, v36, -v68
	v_fma_f32 v48, v52, v38, -v70
	v_fmac_f32_e32 v113, v57, v32
	v_fma_f32 v52, v60, v34, -v114
	v_fma_f32 v50, v50, v40, -v118
	v_fmac_f32_e32 v119, v51, v40
	v_fma_f32 v51, v54, v42, -v120
	v_fma_f32 v54, v58, v28, -v122
	v_mul_f32_e32 v115, v60, v35
	v_dual_mul_f32 v123, v58, v29 :: v_dual_add_f32 v58, v48, v52
	v_fmac_f32_e32 v71, v53, v38
	v_fma_f32 v53, v64, v89, -v116
	v_dual_fmac_f32 v117, v65, v89 :: v_dual_add_f32 v114, v50, v54
	v_fmac_f32_e32 v121, v55, v42
	s_wait_dscnt 0x0
	v_add_f32_e32 v57, v91, v48
	v_sub_f32_e32 v48, v48, v52
	v_dual_fmac_f32 v69, v49, v36 :: v_dual_add_f32 v60, v92, v71
	v_fma_f32 v49, v56, v32, -v112
	v_fma_f32 v56, v66, v87, -v126
	;; [unrolled: 1-line block ×3, first 2 shown]
	v_fmac_f32_e32 v115, v61, v34
	v_fmac_f32_e32 v125, v63, v30
	s_delay_alu instid0(VALU_DEP_4)
	v_dual_fmac_f32 v127, v67, v87 :: v_dual_sub_f32 v122, v54, v56
	v_add_f32_e32 v62, v68, v49
	v_dual_add_f32 v66, v113, v117 :: v_dual_fmac_f32 v123, v59, v28
	v_add_f32_e32 v112, v94, v121
	v_add_f32_e32 v63, v49, v53
	v_sub_f32_e32 v64, v113, v117
	s_delay_alu instid0(VALU_DEP_4)
	v_dual_add_f32 v65, v69, v113 :: v_dual_add_f32 v120, v119, v123
	v_add_f32_e32 v67, v93, v51
	v_add_f32_e32 v70, v51, v55
	;; [unrolled: 1-line block ×3, first 2 shown]
	v_sub_f32_e32 v118, v123, v127
	v_fma_f32 v58, -0.5, v58, v91
	v_fmac_f32_e32 v68, -0.5, v63
	v_dual_sub_f32 v59, v71, v115 :: v_dual_add_f32 v52, v57, v52
	v_add_f32_e32 v113, v121, v125
	v_add_f32_e32 v61, v71, v115
	v_dual_sub_f32 v71, v121, v125 :: v_dual_fmac_f32 v50, -0.5, v116
	v_add_f32_e32 v121, v123, v127
	s_delay_alu instid0(VALU_DEP_4)
	v_dual_fmac_f32 v69, -0.5, v66 :: v_dual_fmac_f32 v94, -0.5, v113
	v_dual_add_f32 v66, v114, v56 :: v_dual_sub_f32 v49, v49, v53
	v_dual_add_f32 v53, v62, v53 :: v_dual_add_f32 v62, v67, v55
	v_add_f32_e32 v57, v60, v115
	v_fma_f32 v60, -0.5, v61, v92
	v_fmamk_f32 v91, v64, 0x3f5db3d7, v68
	v_dual_fmac_f32 v68, 0xbf5db3d7, v64 :: v_dual_fmac_f32 v119, -0.5, v121
	v_dual_add_f32 v56, v62, v66 :: v_dual_sub_f32 v51, v51, v55
	v_add_f32_e32 v61, v65, v117
	v_fma_f32 v65, -0.5, v70, v93
	v_fmamk_f32 v70, v59, 0x3f5db3d7, v58
	v_fmac_f32_e32 v58, 0xbf5db3d7, v59
	v_fmamk_f32 v59, v48, 0xbf5db3d7, v60
	v_fmac_f32_e32 v60, 0x3f5db3d7, v48
	v_add_f32_e32 v48, v52, v53
	v_fmamk_f32 v64, v49, 0xbf5db3d7, v69
	v_sub_f32_e32 v54, v52, v53
	v_dual_fmamk_f32 v52, v122, 0xbf5db3d7, v119 :: v_dual_add_f32 v63, v112, v125
	v_add_f32_e32 v67, v120, v127
	v_fmac_f32_e32 v69, 0x3f5db3d7, v49
	v_dual_fmamk_f32 v92, v71, 0x3f5db3d7, v65 :: v_dual_add_f32 v49, v57, v61
	s_delay_alu instid0(VALU_DEP_4)
	v_mul_f32_e32 v112, 0x3f5db3d7, v52
	v_fmamk_f32 v93, v51, 0xbf5db3d7, v94
	v_fmac_f32_e32 v94, 0x3f5db3d7, v51
	v_fmamk_f32 v51, v118, 0x3f5db3d7, v50
	v_dual_sub_f32 v55, v57, v61 :: v_dual_fmac_f32 v50, 0xbf5db3d7, v118
	v_dual_sub_f32 v62, v62, v66 :: v_dual_mul_f32 v61, 0x3f5db3d7, v64
	s_delay_alu instid0(VALU_DEP_3) | instskip(SKIP_4) | instid1(VALU_DEP_4)
	v_fmac_f32_e32 v112, 0.5, v51
	v_dual_mul_f32 v66, -0.5, v68 :: v_dual_fmac_f32 v65, 0xbf5db3d7, v71
	v_fmac_f32_e32 v119, 0x3f5db3d7, v122
	v_dual_mul_f32 v113, -0.5, v50 :: v_dual_mul_f32 v114, 0xbf5db3d7, v51
	v_add_f32_e32 v57, v63, v67
	v_dual_fmac_f32 v61, 0.5, v91 :: v_dual_fmac_f32 v66, 0x3f5db3d7, v69
	v_sub_f32_e32 v63, v63, v67
	v_mul_f32_e32 v67, 0xbf5db3d7, v91
	v_dual_mul_f32 v71, -0.5, v69 :: v_dual_fmac_f32 v114, 0.5, v52
	s_delay_alu instid0(VALU_DEP_4)
	v_add_f32_e32 v52, v58, v66
	ds_store_2addr_b64 v97, v[48:49], v[56:57] offset1:119
	v_dual_fmac_f32 v71, 0xbf5db3d7, v68 :: v_dual_sub_f32 v68, v70, v61
	v_fmac_f32_e32 v67, 0.5, v64
	v_dual_sub_f32 v64, v92, v112 :: v_dual_fmac_f32 v113, 0x3f5db3d7, v119
	v_mul_f32_e32 v115, -0.5, v119
	s_delay_alu instid0(VALU_DEP_4) | instskip(SKIP_1) | instid1(VALU_DEP_4)
	v_add_f32_e32 v53, v60, v71
	v_sub_f32_e32 v71, v60, v71
	v_dual_add_f32 v51, v59, v67 :: v_dual_add_f32 v60, v65, v113
	s_delay_alu instid0(VALU_DEP_4) | instskip(SKIP_2) | instid1(VALU_DEP_3)
	v_dual_fmac_f32 v115, 0xbf5db3d7, v50 :: v_dual_add_f32 v50, v70, v61
	v_dual_sub_f32 v70, v58, v66 :: v_dual_sub_f32 v69, v59, v67
	v_dual_add_f32 v58, v92, v112 :: v_dual_add_f32 v59, v93, v114
	v_dual_add_f32 v61, v94, v115 :: v_dual_sub_f32 v66, v65, v113
	v_sub_f32_e32 v65, v93, v114
	v_sub_f32_e32 v67, v94, v115
	ds_store_2addr_b64 v109, v[54:55], v[62:63] offset0:74 offset1:193
	ds_store_2addr_b64 v107, v[50:51], v[58:59] offset0:110 offset1:229
	;; [unrolled: 1-line block ×5, first 2 shown]
	global_wb scope:SCOPE_SE
	s_wait_dscnt 0x0
	s_barrier_signal -1
	s_barrier_wait -1
	global_inv scope:SCOPE_SE
	s_and_saveexec_b32 s1, vcc_lo
	s_cbranch_execz .LBB0_13
; %bb.12:
	global_load_b64 v[91:92], v95, s[8:9] offset:11424
	s_add_nc_u64 s[2:3], s[8:9], 0x2ca0
	s_clause 0xf
	global_load_b64 v[135:136], v95, s[2:3] offset:672
	global_load_b64 v[137:138], v95, s[2:3] offset:1344
	;; [unrolled: 1-line block ×16, first 2 shown]
	ds_load_b64 v[93:94], v97
	v_add_nc_u32_e32 v168, 0x400, v95
	v_add_nc_u32_e32 v169, 0x800, v95
	s_wait_loadcnt_dscnt 0x1000
	v_mul_f32_e32 v107, v94, v92
	v_mul_f32_e32 v108, v93, v92
	s_delay_alu instid0(VALU_DEP_2) | instskip(NEXT) | instid1(VALU_DEP_2)
	v_fma_f32 v107, v93, v91, -v107
	v_fmac_f32_e32 v108, v94, v91
	ds_store_b64 v97, v[107:108]
	ds_load_2addr_b64 v[91:94], v95 offset0:84 offset1:168
	ds_load_2addr_b64 v[107:110], v168 offset0:124 offset1:208
	;; [unrolled: 1-line block ×3, first 2 shown]
	v_add_nc_u32_e32 v170, 0x1000, v95
	v_add_nc_u32_e32 v171, 0x1400, v95
	;; [unrolled: 1-line block ×4, first 2 shown]
	s_wait_loadcnt_dscnt 0xf02
	v_dual_mul_f32 v167, v91, v136 :: v_dual_add_nc_u32 v174, 0x2400, v95
	ds_load_2addr_b64 v[115:118], v170 offset0:76 offset1:160
	s_wait_loadcnt_dscnt 0xb01
	v_mul_f32_e32 v179, v112, v144
	v_dual_mul_f32 v175, v92, v136 :: v_dual_mul_f32 v176, v94, v138
	v_dual_mul_f32 v136, v93, v138 :: v_dual_mul_f32 v177, v108, v140
	ds_load_2addr_b64 v[119:122], v171 offset0:116 offset1:200
	ds_load_2addr_b64 v[123:126], v172 offset0:156 offset1:240
	;; [unrolled: 1-line block ×4, first 2 shown]
	v_dual_mul_f32 v138, v107, v140 :: v_dual_fmac_f32 v167, v92, v135
	v_mul_f32_e32 v178, v110, v142
	v_mul_f32_e32 v140, v109, v142
	v_mul_f32_e32 v142, v111, v144
	s_wait_loadcnt 0xa
	v_mul_f32_e32 v180, v114, v146
	v_mul_f32_e32 v144, v113, v146
	v_fmac_f32_e32 v136, v94, v137
	v_fmac_f32_e32 v138, v108, v139
	;; [unrolled: 1-line block ×3, first 2 shown]
	s_wait_loadcnt_dscnt 0x904
	v_mul_f32_e32 v181, v116, v148
	v_mul_f32_e32 v146, v115, v148
	s_wait_loadcnt 0x8
	v_mul_f32_e32 v182, v118, v150
	s_wait_loadcnt_dscnt 0x703
	v_dual_mul_f32 v148, v117, v150 :: v_dual_mul_f32 v183, v120, v152
	v_mul_f32_e32 v150, v119, v152
	s_wait_loadcnt_dscnt 0x100
	v_dual_mul_f32 v189, v132, v164 :: v_dual_mul_f32 v184, v122, v154
	v_dual_mul_f32 v152, v121, v154 :: v_dual_mul_f32 v185, v124, v156
	v_mul_f32_e32 v154, v123, v156
	v_mul_f32_e32 v186, v126, v158
	v_dual_mul_f32 v156, v125, v158 :: v_dual_mul_f32 v187, v128, v160
	v_mul_f32_e32 v158, v127, v160
	v_mul_f32_e32 v188, v130, v162
	;; [unrolled: 1-line block ×4, first 2 shown]
	s_wait_loadcnt 0x0
	v_mul_f32_e32 v190, v134, v166
	v_mul_f32_e32 v164, v133, v166
	v_fma_f32 v166, v91, v135, -v175
	v_fma_f32 v135, v93, v137, -v176
	;; [unrolled: 1-line block ×4, first 2 shown]
	v_fmac_f32_e32 v140, v110, v141
	v_fma_f32 v141, v111, v143, -v179
	v_fma_f32 v143, v113, v145, -v180
	v_fmac_f32_e32 v144, v114, v145
	v_fma_f32 v145, v115, v147, -v181
	v_fmac_f32_e32 v146, v116, v147
	;; [unrolled: 2-line block ×11, first 2 shown]
	ds_store_2addr_b64 v95, v[166:167], v[135:136] offset0:84 offset1:168
	ds_store_2addr_b64 v168, v[137:138], v[139:140] offset0:124 offset1:208
	;; [unrolled: 1-line block ×8, first 2 shown]
.LBB0_13:
	s_wait_alu 0xfffe
	s_or_b32 exec_lo, exec_lo, s1
	global_wb scope:SCOPE_SE
	s_wait_dscnt 0x0
	s_barrier_signal -1
	s_barrier_wait -1
	global_inv scope:SCOPE_SE
	s_and_saveexec_b32 s1, vcc_lo
	s_cbranch_execz .LBB0_15
; %bb.14:
	v_add_nc_u32_e32 v0, 0x800, v97
	v_add_nc_u32_e32 v1, 0xc00, v97
	;; [unrolled: 1-line block ×3, first 2 shown]
	ds_load_2addr_b64 v[48:51], v97 offset1:84
	ds_load_2addr_b64 v[52:55], v97 offset0:168 offset1:252
	v_add_nc_u32_e32 v3, 0x1c00, v97
	ds_load_2addr_b64 v[68:71], v0 offset0:80 offset1:164
	v_add_nc_u32_e32 v0, 0x1800, v97
	v_add_nc_u32_e32 v73, 0x2000, v97
	ds_load_2addr_b64 v[56:59], v1 offset0:120 offset1:204
	ds_load_2addr_b64 v[60:63], v2 offset0:160 offset1:244
	;; [unrolled: 1-line block ×5, first 2 shown]
	ds_load_b64 v[73:74], v97 offset:10752
.LBB0_15:
	s_wait_alu 0xfffe
	s_or_b32 exec_lo, exec_lo, s1
	s_wait_dscnt 0x0
	v_dual_sub_f32 v164, v51, v74 :: v_dual_sub_f32 v165, v50, v73
	v_dual_add_f32 v166, v74, v51 :: v_dual_add_f32 v163, v73, v50
	v_sub_f32_e32 v125, v53, v3
	s_delay_alu instid0(VALU_DEP_3) | instskip(NEXT) | instid1(VALU_DEP_3)
	v_dual_mul_f32 v167, 0xbf7ee86f, v164 :: v_dual_add_f32 v114, v3, v53
	v_dual_mul_f32 v168, 0x3dbcf732, v166 :: v_dual_add_f32 v107, v2, v52
	v_mul_f32_e32 v170, 0xbe8c1d8e, v166
	s_delay_alu instid0(VALU_DEP_3) | instskip(SKIP_1) | instid1(VALU_DEP_4)
	v_fma_f32 v91, 0x3dbcf732, v163, -v167
	v_mul_f32_e32 v169, 0xbf763a35, v164
	v_fmamk_f32 v92, v165, 0xbf7ee86f, v168
	v_mul_f32_e32 v142, 0x3f06c442, v125
	s_delay_alu instid0(VALU_DEP_4) | instskip(NEXT) | instid1(VALU_DEP_3)
	v_dual_fmamk_f32 v94, v165, 0xbf763a35, v170 :: v_dual_add_f32 v91, v48, v91
	v_dual_mul_f32 v135, 0xbe3c28d5, v125 :: v_dual_add_f32 v92, v49, v92
	v_fma_f32 v93, 0xbe8c1d8e, v163, -v169
	v_mul_f32_e32 v136, 0xbf7ba420, v114
	s_delay_alu instid0(VALU_DEP_4) | instskip(NEXT) | instid1(VALU_DEP_4)
	v_dual_add_f32 v94, v49, v94 :: v_dual_sub_f32 v127, v55, v1
	v_fma_f32 v109, 0xbf7ba420, v107, -v135
	v_sub_f32_e32 v108, v52, v2
	v_dual_add_f32 v93, v48, v93 :: v_dual_add_f32 v118, v1, v55
	s_delay_alu instid0(VALU_DEP_4) | instskip(NEXT) | instid1(VALU_DEP_4)
	v_mul_f32_e32 v137, 0x3f763a35, v127
	v_add_f32_e32 v91, v109, v91
	v_add_f32_e32 v109, v0, v54
	v_fma_f32 v111, 0xbf59a7d5, v107, -v142
	v_dual_fmamk_f32 v110, v108, 0xbe3c28d5, v136 :: v_dual_sub_f32 v129, v69, v47
	v_sub_f32_e32 v130, v71, v45
	v_sub_f32_e32 v133, v59, v65
	s_delay_alu instid0(VALU_DEP_4) | instskip(NEXT) | instid1(VALU_DEP_4)
	v_add_f32_e32 v93, v111, v93
	v_dual_mul_f32 v143, 0xbf59a7d5, v114 :: v_dual_add_f32 v92, v110, v92
	v_sub_f32_e32 v110, v54, v0
	v_fma_f32 v113, 0xbe8c1d8e, v109, -v137
	s_delay_alu instid0(VALU_DEP_3) | instskip(SKIP_2) | instid1(VALU_DEP_4)
	v_dual_add_f32 v111, v46, v68 :: v_dual_fmamk_f32 v112, v108, 0x3f06c442, v143
	v_mul_f32_e32 v138, 0xbe8c1d8e, v118
	v_mul_f32_e32 v139, 0x3eb8f4ab, v129
	v_add_f32_e32 v91, v113, v91
	s_delay_alu instid0(VALU_DEP_4) | instskip(NEXT) | instid1(VALU_DEP_4)
	v_dual_add_f32 v121, v47, v69 :: v_dual_add_f32 v94, v112, v94
	v_fmamk_f32 v112, v110, 0x3f763a35, v138
	v_mul_f32_e32 v147, 0x3f3d2fb0, v118
	v_fma_f32 v116, 0x3f6eb680, v111, -v139
	s_delay_alu instid0(VALU_DEP_4) | instskip(NEXT) | instid1(VALU_DEP_4)
	v_mul_f32_e32 v140, 0x3f6eb680, v121
	v_dual_mul_f32 v149, 0xbf65296c, v129 :: v_dual_add_f32 v92, v112, v92
	s_delay_alu instid0(VALU_DEP_4) | instskip(NEXT) | instid1(VALU_DEP_4)
	v_dual_mul_f32 v146, 0x3f2c7751, v127 :: v_dual_fmamk_f32 v115, v110, 0x3f2c7751, v147
	v_add_f32_e32 v91, v116, v91
	v_dual_mul_f32 v151, 0x3ee437d1, v121 :: v_dual_add_f32 v124, v45, v71
	s_delay_alu instid0(VALU_DEP_3) | instskip(SKIP_3) | instid1(VALU_DEP_3)
	v_fma_f32 v113, 0x3f3d2fb0, v109, -v146
	v_sub_f32_e32 v112, v68, v46
	v_dual_add_f32 v94, v115, v94 :: v_dual_sub_f32 v115, v70, v44
	v_fma_f32 v117, 0x3ee437d1, v111, -v149
	v_dual_add_f32 v93, v113, v93 :: v_dual_fmamk_f32 v116, v112, 0x3eb8f4ab, v140
	v_add_f32_e32 v113, v44, v70
	v_mul_f32_e32 v141, 0xbf65296c, v130
	v_dual_fmamk_f32 v119, v112, 0xbf65296c, v151 :: v_dual_sub_f32 v132, v57, v67
	s_delay_alu instid0(VALU_DEP_4) | instskip(SKIP_1) | instid1(VALU_DEP_4)
	v_dual_mul_f32 v144, 0x3ee437d1, v124 :: v_dual_add_f32 v93, v117, v93
	v_add_f32_e32 v92, v116, v92
	v_fma_f32 v120, 0x3ee437d1, v113, -v141
	v_dual_mul_f32 v153, 0xbe3c28d5, v130 :: v_dual_add_f32 v126, v67, v57
	v_add_f32_e32 v94, v119, v94
	v_dual_fmamk_f32 v119, v115, 0xbf65296c, v144 :: v_dual_add_f32 v116, v66, v56
	s_delay_alu instid0(VALU_DEP_4) | instskip(SKIP_4) | instid1(VALU_DEP_3)
	v_dual_add_f32 v91, v120, v91 :: v_dual_mul_f32 v156, 0xbf7ba420, v124
	v_sub_f32_e32 v117, v56, v66
	v_fma_f32 v120, 0xbf7ba420, v113, -v153
	v_mul_f32_e32 v148, 0xbf59a7d5, v126
	v_dual_mul_f32 v157, 0x3f7ee86f, v132 :: v_dual_add_f32 v128, v65, v59
	v_dual_fmamk_f32 v122, v115, 0xbe3c28d5, v156 :: v_dual_add_f32 v93, v120, v93
	s_delay_alu instid0(VALU_DEP_3)
	v_dual_add_f32 v92, v119, v92 :: v_dual_fmamk_f32 v119, v117, 0xbf06c442, v148
	v_sub_f32_e32 v120, v58, v64
	v_mul_f32_e32 v150, 0x3f4c4adb, v133
	v_mul_f32_e32 v159, 0x3dbcf732, v126
	v_mul_f32_e32 v160, 0x3f6eb680, v128
	v_dual_add_f32 v92, v119, v92 :: v_dual_add_f32 v119, v64, v58
	v_dual_mul_f32 v145, 0xbf06c442, v132 :: v_dual_add_f32 v94, v122, v94
	v_fma_f32 v122, 0x3dbcf732, v116, -v157
	v_mul_f32_e32 v152, 0xbf1a4643, v128
	s_delay_alu instid0(VALU_DEP_4) | instskip(NEXT) | instid1(VALU_DEP_4)
	v_fma_f32 v131, 0xbf1a4643, v119, -v150
	v_fma_f32 v123, 0xbf59a7d5, v116, -v145
	global_wb scope:SCOPE_SE
	v_add_f32_e32 v93, v122, v93
	s_barrier_signal -1
	s_barrier_wait -1
	v_dual_add_f32 v91, v123, v91 :: v_dual_mul_f32 v158, 0xbeb8f4ab, v133
	global_inv scope:SCOPE_SE
	v_add_f32_e32 v91, v131, v91
	v_fma_f32 v134, 0x3f6eb680, v119, -v158
	v_dual_fmamk_f32 v122, v120, 0x3f4c4adb, v152 :: v_dual_add_f32 v131, v63, v61
	s_delay_alu instid0(VALU_DEP_2) | instskip(NEXT) | instid1(VALU_DEP_2)
	v_add_f32_e32 v171, v134, v93
	v_dual_fmamk_f32 v123, v117, 0x3f7ee86f, v159 :: v_dual_add_f32 v92, v122, v92
	v_dual_sub_f32 v134, v61, v63 :: v_dual_fmamk_f32 v93, v120, 0xbeb8f4ab, v160
	s_delay_alu instid0(VALU_DEP_4) | instskip(NEXT) | instid1(VALU_DEP_3)
	v_dual_add_f32 v122, v62, v60 :: v_dual_mul_f32 v155, 0x3f3d2fb0, v131
	v_add_f32_e32 v94, v123, v94
	v_sub_f32_e32 v123, v60, v62
	s_delay_alu instid0(VALU_DEP_4) | instskip(SKIP_3) | instid1(VALU_DEP_4)
	v_mul_f32_e32 v154, 0x3f2c7751, v134
	v_mul_f32_e32 v162, 0xbf1a4643, v131
	;; [unrolled: 1-line block ×3, first 2 shown]
	v_add_f32_e32 v172, v93, v94
	v_fma_f32 v93, 0x3f3d2fb0, v122, -v154
	s_delay_alu instid0(VALU_DEP_4) | instskip(NEXT) | instid1(VALU_DEP_4)
	v_fmamk_f32 v174, v123, 0xbf4c4adb, v162
	v_fma_f32 v173, 0xbf1a4643, v122, -v161
	s_delay_alu instid0(VALU_DEP_3) | instskip(NEXT) | instid1(VALU_DEP_1)
	v_dual_fmamk_f32 v94, v123, 0x3f2c7751, v155 :: v_dual_add_f32 v93, v93, v91
	v_dual_add_f32 v91, v173, v171 :: v_dual_add_f32 v94, v94, v92
	s_delay_alu instid0(VALU_DEP_4)
	v_add_f32_e32 v92, v174, v172
	s_and_saveexec_b32 s1, vcc_lo
	s_cbranch_execz .LBB0_17
; %bb.16:
	v_dual_add_f32 v51, v51, v49 :: v_dual_add_f32 v50, v50, v48
	v_mul_f32_e32 v178, 0x3f3d2fb0, v124
	v_dual_mul_f32 v180, 0x3dbcf732, v128 :: v_dual_mul_f32 v189, 0x3dbcf732, v114
	s_delay_alu instid0(VALU_DEP_3) | instskip(SKIP_2) | instid1(VALU_DEP_3)
	v_dual_add_f32 v51, v53, v51 :: v_dual_add_f32 v50, v52, v50
	v_mul_f32_e32 v190, 0xbf7ba420, v121
	v_mul_f32_e32 v182, 0x3e3c28d5, v127
	v_dual_mul_f32 v184, 0x3f2c7751, v130 :: v_dual_add_f32 v51, v55, v51
	s_delay_alu instid0(VALU_DEP_4) | instskip(SKIP_2) | instid1(VALU_DEP_3)
	v_dual_add_f32 v50, v54, v50 :: v_dual_mul_f32 v185, 0xbeb8f4ab, v132
	v_mul_f32_e32 v186, 0xbf7ee86f, v133
	v_mul_f32_e32 v191, 0xbf59a7d5, v124
	v_dual_add_f32 v51, v69, v51 :: v_dual_add_f32 v50, v68, v50
	v_mul_f32_e32 v188, 0xbf06c442, v134
	v_mul_f32_e32 v187, 0xbf59a7d5, v131
	s_delay_alu instid0(VALU_DEP_3) | instskip(NEXT) | instid1(VALU_DEP_4)
	v_dual_mul_f32 v192, 0xbe8c1d8e, v126 :: v_dual_add_f32 v51, v71, v51
	v_add_f32_e32 v50, v70, v50
	v_mul_f32_e32 v194, 0xbf7ee86f, v125
	v_mul_f32_e32 v200, 0x3f6eb680, v131
	;; [unrolled: 1-line block ×3, first 2 shown]
	s_delay_alu instid0(VALU_DEP_4) | instskip(SKIP_3) | instid1(VALU_DEP_4)
	v_dual_add_f32 v51, v57, v51 :: v_dual_add_f32 v50, v56, v50
	v_mul_f32_e32 v181, 0xbf4c4adb, v125
	v_mul_f32_e32 v179, 0x3f6eb680, v126
	v_mul_f32_e32 v183, 0x3f763a35, v129
	v_dual_add_f32 v51, v59, v51 :: v_dual_add_f32 v50, v58, v50
	v_mul_f32_e32 v193, 0x3ee437d1, v128
	s_delay_alu instid0(VALU_DEP_2) | instskip(SKIP_2) | instid1(VALU_DEP_3)
	v_dual_add_f32 v51, v61, v51 :: v_dual_add_f32 v50, v60, v50
	v_mul_f32_e32 v60, 0xbf4c4adb, v164
	v_mul_f32_e32 v61, 0xbe3c28d5, v164
	v_dual_add_f32 v51, v63, v51 :: v_dual_add_f32 v50, v62, v50
	v_mul_f32_e32 v62, 0xbf06c442, v164
	v_mul_f32_e32 v63, 0xbf65296c, v164
	v_fma_f32 v68, 0xbf1a4643, v163, -v60
	s_delay_alu instid0(VALU_DEP_4) | instskip(NEXT) | instid1(VALU_DEP_3)
	v_dual_add_f32 v51, v65, v51 :: v_dual_add_f32 v50, v64, v50
	v_dual_mul_f32 v54, 0x3ee437d1, v166 :: v_dual_fmamk_f32 v69, v163, 0x3ee437d1, v63
	s_delay_alu instid0(VALU_DEP_2) | instskip(NEXT) | instid1(VALU_DEP_3)
	v_dual_add_f32 v68, v48, v68 :: v_dual_add_f32 v51, v67, v51
	v_add_f32_e32 v50, v66, v50
	v_fma_f32 v66, 0xbf7ba420, v163, -v61
	v_fma_f32 v67, 0xbf59a7d5, v163, -v62
	v_fmac_f32_e32 v62, 0xbf59a7d5, v163
	s_delay_alu instid0(VALU_DEP_4) | instskip(SKIP_1) | instid1(VALU_DEP_3)
	v_dual_add_f32 v45, v45, v51 :: v_dual_add_f32 v44, v44, v50
	v_mul_f32_e32 v50, 0xbf06c442, v165
	v_dual_mul_f32 v52, 0xbf4c4adb, v165 :: v_dual_add_f32 v171, v48, v62
	s_delay_alu instid0(VALU_DEP_3) | instskip(SKIP_2) | instid1(VALU_DEP_3)
	v_dual_add_f32 v45, v47, v45 :: v_dual_add_f32 v44, v46, v44
	v_mul_f32_e32 v46, 0xbe3c28d5, v165
	v_mul_f32_e32 v65, 0xbeb8f4ab, v164
	v_dual_mul_f32 v56, 0x3f6eb680, v166 :: v_dual_add_f32 v1, v1, v45
	s_delay_alu instid0(VALU_DEP_4) | instskip(SKIP_1) | instid1(VALU_DEP_3)
	v_dual_add_f32 v0, v0, v44 :: v_dual_mul_f32 v45, 0x3dbcf732, v163
	v_mul_f32_e32 v44, 0xbf7ee86f, v165
	v_dual_fmac_f32 v60, 0xbf1a4643, v163 :: v_dual_add_f32 v3, v3, v1
	s_delay_alu instid0(VALU_DEP_3) | instskip(NEXT) | instid1(VALU_DEP_4)
	v_add_f32_e32 v2, v2, v0
	v_dual_mul_f32 v0, 0xbf763a35, v165 :: v_dual_add_f32 v45, v45, v167
	v_mul_f32_e32 v64, 0xbf2c7751, v164
	v_mul_f32_e32 v1, 0xbe8c1d8e, v163
	s_delay_alu instid0(VALU_DEP_3)
	v_dual_add_f32 v167, v48, v66 :: v_dual_sub_f32 v0, v170, v0
	v_fmamk_f32 v51, v166, 0xbf59a7d5, v50
	v_fmamk_f32 v47, v166, 0xbf7ba420, v46
	v_fma_f32 v46, 0xbf7ba420, v166, -v46
	v_fmamk_f32 v53, v166, 0xbf1a4643, v52
	v_fma_f32 v52, 0xbf1a4643, v166, -v52
	v_add_f32_e32 v177, v48, v45
	v_dual_mul_f32 v55, 0x3f3d2fb0, v166 :: v_dual_fmamk_f32 v70, v163, 0x3f3d2fb0, v64
	v_fmamk_f32 v57, v165, 0x3f65296c, v54
	v_fma_f32 v50, 0xbf59a7d5, v166, -v50
	v_dual_fmac_f32 v54, 0xbf65296c, v165 :: v_dual_add_f32 v173, v48, v60
	v_dual_fmac_f32 v61, 0xbf7ba420, v163 :: v_dual_add_f32 v172, v49, v52
	v_fmamk_f32 v58, v165, 0x3f2c7751, v55
	s_delay_alu instid0(VALU_DEP_4)
	v_dual_fmac_f32 v55, 0xbf2c7751, v165 :: v_dual_add_f32 v170, v49, v50
	v_dual_fmamk_f32 v71, v163, 0x3f6eb680, v65 :: v_dual_add_f32 v70, v48, v70
	v_add_f32_e32 v66, v49, v57
	v_fma_f32 v63, 0x3ee437d1, v163, -v63
	v_fmamk_f32 v59, v165, 0x3eb8f4ab, v56
	v_dual_fmac_f32 v56, 0xbeb8f4ab, v165 :: v_dual_add_f32 v165, v48, v67
	v_dual_add_f32 v1, v1, v169 :: v_dual_sub_f32 v44, v168, v44
	v_fma_f32 v64, 0x3f3d2fb0, v163, -v64
	v_add_f32_e32 v164, v49, v51
	v_dual_add_f32 v166, v49, v47 :: v_dual_add_f32 v169, v48, v61
	s_delay_alu instid0(VALU_DEP_4)
	v_dual_add_f32 v176, v49, v44 :: v_dual_add_f32 v67, v48, v69
	v_dual_add_f32 v69, v49, v58 :: v_dual_add_f32 v58, v48, v63
	v_dual_add_f32 v44, v49, v59 :: v_dual_mul_f32 v47, 0x3f3d2fb0, v114
	v_add_f32_e32 v168, v49, v46
	v_dual_add_f32 v174, v49, v0 :: v_dual_add_f32 v45, v48, v71
	v_add_f32_e32 v57, v49, v55
	v_dual_add_f32 v51, v48, v64 :: v_dual_add_f32 v60, v73, v2
	v_fmamk_f32 v2, v108, 0x3f2c7751, v47
	v_mul_f32_e32 v46, 0x3ee437d1, v118
	v_dual_add_f32 v0, v49, v56 :: v_dual_add_f32 v61, v74, v3
	s_delay_alu instid0(VALU_DEP_3) | instskip(NEXT) | instid1(VALU_DEP_3)
	v_dual_mul_f32 v55, 0xbf7ee86f, v129 :: v_dual_add_f32 v2, v2, v44
	v_fmamk_f32 v3, v110, 0x3f65296c, v46
	v_mul_f32_e32 v44, 0x3dbcf732, v121
	v_fma_f32 v65, 0x3f6eb680, v163, -v65
	v_add_f32_e32 v175, v48, v1
	s_delay_alu instid0(VALU_DEP_4) | instskip(NEXT) | instid1(VALU_DEP_4)
	v_dual_add_f32 v163, v49, v53 :: v_dual_add_f32 v2, v3, v2
	v_fmamk_f32 v3, v112, 0x3f7ee86f, v44
	s_delay_alu instid0(VALU_DEP_4) | instskip(SKIP_2) | instid1(VALU_DEP_4)
	v_add_f32_e32 v1, v48, v65
	v_dual_add_f32 v59, v49, v54 :: v_dual_mul_f32 v52, 0xbf2c7751, v125
	v_mul_f32_e32 v56, 0xbf65296c, v127
	v_dual_add_f32 v2, v3, v2 :: v_dual_mul_f32 v3, 0xbe8c1d8e, v124
	v_mul_f32_e32 v73, 0xbf7ba420, v118
	v_mul_f32_e32 v74, 0xbe8c1d8e, v121
	v_fmac_f32_e32 v47, 0xbf2c7751, v108
	s_delay_alu instid0(VALU_DEP_4) | instskip(NEXT) | instid1(VALU_DEP_4)
	v_fmamk_f32 v48, v115, 0x3f763a35, v3
	v_fmamk_f32 v65, v110, 0xbe3c28d5, v73
	v_mul_f32_e32 v71, 0xbf1a4643, v114
	s_delay_alu instid0(VALU_DEP_4) | instskip(NEXT) | instid1(VALU_DEP_4)
	v_dual_fmac_f32 v73, 0x3e3c28d5, v110 :: v_dual_add_f32 v0, v47, v0
	v_add_f32_e32 v48, v48, v2
	v_mul_f32_e32 v2, 0xbf1a4643, v126
	v_fmac_f32_e32 v3, 0xbf763a35, v115
	s_delay_alu instid0(VALU_DEP_2) | instskip(NEXT) | instid1(VALU_DEP_1)
	v_fmamk_f32 v49, v117, 0x3f4c4adb, v2
	v_dual_add_f32 v48, v49, v48 :: v_dual_fmamk_f32 v49, v107, 0x3f3d2fb0, v52
	s_delay_alu instid0(VALU_DEP_1) | instskip(SKIP_2) | instid1(VALU_DEP_2)
	v_add_f32_e32 v49, v49, v45
	v_mul_f32_e32 v45, 0xbf59a7d5, v128
	v_fmac_f32_e32 v46, 0xbf65296c, v110
	v_fmamk_f32 v50, v120, 0x3f06c442, v45
	s_delay_alu instid0(VALU_DEP_2) | instskip(NEXT) | instid1(VALU_DEP_2)
	v_add_f32_e32 v0, v46, v0
	v_add_f32_e32 v54, v50, v48
	v_fmamk_f32 v48, v109, 0x3ee437d1, v56
	v_mul_f32_e32 v50, 0xbf4c4adb, v132
	s_delay_alu instid0(VALU_DEP_2) | instskip(SKIP_2) | instid1(VALU_DEP_3)
	v_dual_add_f32 v48, v48, v49 :: v_dual_fmamk_f32 v49, v111, 0x3dbcf732, v55
	v_fmac_f32_e32 v44, 0xbf7ee86f, v112
	v_fmac_f32_e32 v45, 0xbf06c442, v120
	v_dual_add_f32 v48, v49, v48 :: v_dual_mul_f32 v53, 0xbf763a35, v130
	v_fma_f32 v46, 0x3dbcf732, v111, -v55
	s_delay_alu instid0(VALU_DEP_2) | instskip(NEXT) | instid1(VALU_DEP_1)
	v_dual_add_f32 v0, v44, v0 :: v_dual_fmamk_f32 v49, v113, 0xbe8c1d8e, v53
	v_add_f32_e32 v0, v3, v0
	v_fma_f32 v3, 0xbf1a4643, v116, -v50
	s_delay_alu instid0(VALU_DEP_3) | instskip(SKIP_2) | instid1(VALU_DEP_3)
	v_dual_add_f32 v48, v49, v48 :: v_dual_fmamk_f32 v49, v116, 0xbf1a4643, v50
	v_fma_f32 v44, 0xbe8c1d8e, v113, -v53
	v_fmac_f32_e32 v2, 0xbf4c4adb, v117
	v_dual_add_f32 v48, v49, v48 :: v_dual_mul_f32 v49, 0xbf06c442, v133
	s_delay_alu instid0(VALU_DEP_2) | instskip(NEXT) | instid1(VALU_DEP_2)
	v_add_f32_e32 v0, v2, v0
	v_fmamk_f32 v62, v119, 0xbf59a7d5, v49
	v_fma_f32 v2, 0xbf59a7d5, v119, -v49
	s_delay_alu instid0(VALU_DEP_3) | instskip(NEXT) | instid1(VALU_DEP_3)
	v_add_f32_e32 v0, v45, v0
	v_add_f32_e32 v62, v62, v48
	v_mul_f32_e32 v48, 0xbf7ba420, v131
	s_delay_alu instid0(VALU_DEP_1) | instskip(NEXT) | instid1(VALU_DEP_1)
	v_fmamk_f32 v63, v123, 0x3e3c28d5, v48
	v_dual_fmac_f32 v48, 0xbe3c28d5, v123 :: v_dual_add_f32 v63, v63, v54
	v_mul_f32_e32 v54, 0xbe3c28d5, v134
	s_delay_alu instid0(VALU_DEP_1) | instskip(NEXT) | instid1(VALU_DEP_1)
	v_fmamk_f32 v64, v122, 0xbf7ba420, v54
	v_add_f32_e32 v62, v64, v62
	v_fmamk_f32 v64, v108, 0x3f4c4adb, v71
	s_delay_alu instid0(VALU_DEP_1) | instskip(SKIP_1) | instid1(VALU_DEP_2)
	v_add_f32_e32 v64, v64, v66
	v_fmamk_f32 v66, v109, 0xbf7ba420, v182
	v_dual_add_f32 v64, v65, v64 :: v_dual_fmamk_f32 v65, v112, 0xbf763a35, v74
	v_fmac_f32_e32 v71, 0xbf4c4adb, v108
	s_delay_alu instid0(VALU_DEP_2) | instskip(NEXT) | instid1(VALU_DEP_1)
	v_dual_add_f32 v64, v65, v64 :: v_dual_fmamk_f32 v65, v115, 0xbf2c7751, v178
	v_dual_add_f32 v59, v71, v59 :: v_dual_add_f32 v64, v65, v64
	v_fmamk_f32 v65, v117, 0x3eb8f4ab, v179
	s_delay_alu instid0(VALU_DEP_2) | instskip(NEXT) | instid1(VALU_DEP_2)
	v_add_f32_e32 v59, v73, v59
	v_dual_fmac_f32 v179, 0xbeb8f4ab, v117 :: v_dual_add_f32 v64, v65, v64
	v_fmamk_f32 v65, v120, 0x3f7ee86f, v180
	v_fmac_f32_e32 v180, 0xbf7ee86f, v120
	s_delay_alu instid0(VALU_DEP_2) | instskip(NEXT) | instid1(VALU_DEP_1)
	v_dual_add_f32 v64, v65, v64 :: v_dual_fmamk_f32 v65, v107, 0xbf1a4643, v181
	v_add_f32_e32 v65, v65, v67
	s_delay_alu instid0(VALU_DEP_1) | instskip(NEXT) | instid1(VALU_DEP_1)
	v_dual_add_f32 v65, v66, v65 :: v_dual_fmamk_f32 v66, v111, 0xbe8c1d8e, v183
	v_dual_add_f32 v65, v66, v65 :: v_dual_fmamk_f32 v66, v113, 0x3f3d2fb0, v184
	v_fma_f32 v47, 0x3ee437d1, v109, -v56
	s_delay_alu instid0(VALU_DEP_2) | instskip(NEXT) | instid1(VALU_DEP_1)
	v_dual_add_f32 v65, v66, v65 :: v_dual_fmamk_f32 v66, v116, 0x3f6eb680, v185
	v_dual_add_f32 v65, v66, v65 :: v_dual_fmamk_f32 v66, v119, 0x3dbcf732, v186
	s_delay_alu instid0(VALU_DEP_1) | instskip(NEXT) | instid1(VALU_DEP_1)
	v_dual_add_f32 v66, v66, v65 :: v_dual_fmamk_f32 v65, v123, 0x3f06c442, v187
	v_dual_add_f32 v65, v65, v64 :: v_dual_fmamk_f32 v64, v122, 0xbf59a7d5, v188
	s_delay_alu instid0(VALU_DEP_1) | instskip(SKIP_1) | instid1(VALU_DEP_1)
	v_dual_fmac_f32 v187, 0xbf06c442, v123 :: v_dual_add_f32 v64, v64, v66
	v_fmamk_f32 v66, v108, 0x3f7ee86f, v189
	v_dual_fmac_f32 v189, 0xbf7ee86f, v108 :: v_dual_add_f32 v66, v66, v69
	v_mul_f32_e32 v69, 0xbf1a4643, v118
	s_delay_alu instid0(VALU_DEP_2) | instskip(NEXT) | instid1(VALU_DEP_2)
	v_add_f32_e32 v57, v189, v57
	v_fmamk_f32 v67, v110, 0x3f4c4adb, v69
	s_delay_alu instid0(VALU_DEP_1) | instskip(NEXT) | instid1(VALU_DEP_1)
	v_dual_add_f32 v66, v67, v66 :: v_dual_fmamk_f32 v67, v112, 0x3e3c28d5, v190
	v_add_f32_e32 v66, v67, v66
	v_fmamk_f32 v67, v115, 0xbf06c442, v191
	s_delay_alu instid0(VALU_DEP_1) | instskip(NEXT) | instid1(VALU_DEP_1)
	v_dual_add_f32 v66, v67, v66 :: v_dual_fmamk_f32 v67, v117, 0xbf763a35, v192
	v_dual_fmac_f32 v191, 0x3f06c442, v115 :: v_dual_add_f32 v66, v67, v66
	v_fmamk_f32 v67, v120, 0xbf65296c, v193
	s_delay_alu instid0(VALU_DEP_1) | instskip(SKIP_1) | instid1(VALU_DEP_1)
	v_dual_fmac_f32 v193, 0x3f65296c, v120 :: v_dual_add_f32 v66, v67, v66
	v_fmamk_f32 v67, v107, 0x3dbcf732, v194
	v_dual_add_f32 v67, v67, v70 :: v_dual_mul_f32 v70, 0xbf4c4adb, v127
	s_delay_alu instid0(VALU_DEP_1) | instskip(NEXT) | instid1(VALU_DEP_1)
	v_fmamk_f32 v195, v109, 0xbf1a4643, v70
	v_add_f32_e32 v67, v195, v67
	v_mul_f32_e32 v195, 0xbe3c28d5, v129
	s_delay_alu instid0(VALU_DEP_1) | instskip(NEXT) | instid1(VALU_DEP_1)
	v_fmamk_f32 v196, v111, 0xbf7ba420, v195
	v_dual_add_f32 v67, v196, v67 :: v_dual_mul_f32 v196, 0x3f06c442, v130
	v_fmac_f32_e32 v178, 0x3f2c7751, v115
	s_delay_alu instid0(VALU_DEP_2) | instskip(NEXT) | instid1(VALU_DEP_1)
	v_fmamk_f32 v197, v113, 0xbf59a7d5, v196
	v_add_f32_e32 v67, v197, v67
	v_mul_f32_e32 v197, 0x3f763a35, v132
	s_delay_alu instid0(VALU_DEP_1) | instskip(NEXT) | instid1(VALU_DEP_1)
	v_fmamk_f32 v198, v116, 0xbe8c1d8e, v197
	v_dual_add_f32 v67, v198, v67 :: v_dual_mul_f32 v198, 0x3f65296c, v133
	s_delay_alu instid0(VALU_DEP_1) | instskip(NEXT) | instid1(VALU_DEP_1)
	v_fmamk_f32 v199, v119, 0x3ee437d1, v198
	v_add_f32_e32 v199, v199, v67
	v_fmamk_f32 v67, v123, 0xbeb8f4ab, v200
	s_delay_alu instid0(VALU_DEP_1) | instskip(NEXT) | instid1(VALU_DEP_1)
	v_dual_add_f32 v67, v67, v66 :: v_dual_fmamk_f32 v66, v122, 0x3f6eb680, v201
	v_add_f32_e32 v66, v66, v199
	v_mul_lo_u16 v199, v96, 17
	v_fmac_f32_e32 v69, 0xbf4c4adb, v110
	s_delay_alu instid0(VALU_DEP_2) | instskip(NEXT) | instid1(VALU_DEP_2)
	v_and_b32_e32 v199, 0xffff, v199
	v_add_f32_e32 v57, v69, v57
	s_delay_alu instid0(VALU_DEP_2)
	v_lshlrev_b32_e32 v199, 3, v199
	ds_store_2addr_b64 v199, v[60:61], v[62:63] offset1:1
	ds_store_2addr_b64 v199, v[66:67], v[64:65] offset0:2 offset1:3
	v_mul_f32_e32 v62, 0xbf59a7d5, v107
	v_mul_f32_e32 v60, 0x3f06c442, v108
	;; [unrolled: 1-line block ×4, first 2 shown]
	s_delay_alu instid0(VALU_DEP_4) | instskip(NEXT) | instid1(VALU_DEP_4)
	v_dual_mul_f32 v65, 0xbf06c442, v117 :: v_dual_add_f32 v62, v62, v142
	v_sub_f32_e32 v60, v143, v60
	s_delay_alu instid0(VALU_DEP_4) | instskip(NEXT) | instid1(VALU_DEP_4)
	v_add_f32_e32 v63, v63, v146
	v_sub_f32_e32 v61, v147, v61
	s_delay_alu instid0(VALU_DEP_4) | instskip(NEXT) | instid1(VALU_DEP_4)
	v_dual_sub_f32 v65, v148, v65 :: v_dual_add_f32 v62, v62, v175
	v_add_f32_e32 v60, v60, v174
	v_mul_f32_e32 v142, 0x3f2c7751, v120
	v_dual_mul_f32 v67, 0xbf763a35, v134 :: v_dual_mul_f32 v148, 0xbf763a35, v123
	s_delay_alu instid0(VALU_DEP_4) | instskip(NEXT) | instid1(VALU_DEP_4)
	v_dual_add_f32 v62, v63, v62 :: v_dual_mul_f32 v63, 0x3ee437d1, v111
	v_add_f32_e32 v60, v61, v60
	s_delay_alu instid0(VALU_DEP_3) | instskip(SKIP_1) | instid1(VALU_DEP_4)
	v_fma_f32 v147, 0xbe8c1d8e, v122, -v67
	v_fmac_f32_e32 v67, 0xbe8c1d8e, v122
	v_dual_fmac_f32 v190, 0xbe3c28d5, v112 :: v_dual_add_f32 v63, v63, v149
	v_mul_f32_e32 v61, 0xbf65296c, v112
	v_dual_mul_f32 v149, 0x3f763a35, v108 :: v_dual_fmac_f32 v192, 0x3f763a35, v117
	v_fmac_f32_e32 v74, 0x3f763a35, v112
	s_delay_alu instid0(VALU_DEP_4) | instskip(NEXT) | instid1(VALU_DEP_4)
	v_add_f32_e32 v62, v63, v62
	v_sub_f32_e32 v61, v151, v61
	v_mul_f32_e32 v63, 0xbf7ba420, v113
	v_mul_f32_e32 v151, 0xbf06c442, v112
	v_add_f32_e32 v59, v74, v59
	s_delay_alu instid0(VALU_DEP_4) | instskip(NEXT) | instid1(VALU_DEP_4)
	v_dual_add_f32 v57, v190, v57 :: v_dual_add_f32 v60, v61, v60
	v_add_f32_e32 v63, v63, v153
	v_mul_f32_e32 v61, 0xbe3c28d5, v115
	v_mul_f32_e32 v153, 0x3f7ee86f, v115
	v_add_f32_e32 v59, v178, v59
	v_add_f32_e32 v57, v191, v57
	s_delay_alu instid0(VALU_DEP_4) | instskip(SKIP_1) | instid1(VALU_DEP_4)
	v_dual_add_f32 v62, v63, v62 :: v_dual_sub_f32 v61, v156, v61
	v_mul_f32_e32 v63, 0x3dbcf732, v116
	v_add_f32_e32 v59, v179, v59
	s_delay_alu instid0(VALU_DEP_3) | instskip(SKIP_1) | instid1(VALU_DEP_4)
	v_dual_add_f32 v57, v192, v57 :: v_dual_add_f32 v60, v61, v60
	v_mul_f32_e32 v61, 0x3f7ee86f, v117
	v_add_f32_e32 v63, v63, v157
	s_delay_alu instid0(VALU_DEP_4) | instskip(NEXT) | instid1(VALU_DEP_4)
	v_add_f32_e32 v59, v180, v59
	v_add_f32_e32 v57, v193, v57
	s_delay_alu instid0(VALU_DEP_4) | instskip(NEXT) | instid1(VALU_DEP_1)
	v_sub_f32_e32 v61, v159, v61
	v_dual_add_f32 v59, v187, v59 :: v_dual_add_f32 v60, v61, v60
	v_mul_f32_e32 v61, 0xbeb8f4ab, v120
	s_delay_alu instid0(VALU_DEP_1) | instskip(NEXT) | instid1(VALU_DEP_1)
	v_dual_sub_f32 v61, v160, v61 :: v_dual_fmac_f32 v200, 0x3eb8f4ab, v123
	v_dual_add_f32 v60, v61, v60 :: v_dual_add_f32 v61, v63, v62
	v_mul_f32_e32 v63, 0xbf4c4adb, v123
	s_delay_alu instid0(VALU_DEP_3) | instskip(NEXT) | instid1(VALU_DEP_2)
	v_add_f32_e32 v69, v200, v57
	v_sub_f32_e32 v63, v162, v63
	v_mul_f32_e32 v62, 0x3f6eb680, v119
	v_mul_f32_e32 v162, 0x3f65296c, v134
	;; [unrolled: 1-line block ×3, first 2 shown]
	s_delay_alu instid0(VALU_DEP_3) | instskip(NEXT) | instid1(VALU_DEP_1)
	v_add_f32_e32 v62, v62, v158
	v_dual_add_f32 v62, v62, v61 :: v_dual_mul_f32 v61, 0xbf1a4643, v122
	s_delay_alu instid0(VALU_DEP_1) | instskip(SKIP_1) | instid1(VALU_DEP_2)
	v_dual_add_f32 v64, v61, v161 :: v_dual_add_f32 v61, v63, v60
	v_mul_f32_e32 v63, 0x3f763a35, v110
	v_add_f32_e32 v60, v64, v62
	s_delay_alu instid0(VALU_DEP_2) | instskip(SKIP_2) | instid1(VALU_DEP_3)
	v_dual_mul_f32 v62, 0xbe3c28d5, v108 :: v_dual_sub_f32 v63, v138, v63
	v_mul_f32_e32 v64, 0xbf7ba420, v107
	v_mul_f32_e32 v138, 0xbeb8f4ab, v115
	v_sub_f32_e32 v62, v136, v62
	v_mul_f32_e32 v136, 0xbf7ee86f, v110
	s_delay_alu instid0(VALU_DEP_4) | instskip(NEXT) | instid1(VALU_DEP_3)
	v_dual_add_f32 v64, v64, v135 :: v_dual_mul_f32 v135, 0x3f65296c, v108
	v_add_f32_e32 v62, v62, v176
	s_delay_alu instid0(VALU_DEP_1) | instskip(NEXT) | instid1(VALU_DEP_1)
	v_dual_add_f32 v62, v63, v62 :: v_dual_mul_f32 v63, 0x3eb8f4ab, v112
	v_dual_sub_f32 v63, v140, v63 :: v_dual_mul_f32 v140, 0xbe3c28d5, v117
	s_delay_alu instid0(VALU_DEP_1) | instskip(NEXT) | instid1(VALU_DEP_1)
	v_dual_add_f32 v62, v63, v62 :: v_dual_mul_f32 v63, 0xbf65296c, v115
	v_sub_f32_e32 v63, v144, v63
	s_delay_alu instid0(VALU_DEP_1) | instskip(NEXT) | instid1(VALU_DEP_1)
	v_dual_add_f32 v62, v63, v62 :: v_dual_add_f32 v63, v64, v177
	v_dual_add_f32 v62, v65, v62 :: v_dual_mul_f32 v65, 0x3f4c4adb, v120
	s_delay_alu instid0(VALU_DEP_1) | instskip(NEXT) | instid1(VALU_DEP_1)
	v_sub_f32_e32 v65, v152, v65
	v_dual_add_f32 v62, v65, v62 :: v_dual_mul_f32 v65, 0x3f2c7751, v123
	s_delay_alu instid0(VALU_DEP_1) | instskip(SKIP_1) | instid1(VALU_DEP_1)
	v_sub_f32_e32 v65, v155, v65
	v_mul_f32_e32 v64, 0xbe8c1d8e, v109
	v_dual_add_f32 v64, v64, v137 :: v_dual_mul_f32 v137, 0x3f4c4adb, v112
	s_delay_alu instid0(VALU_DEP_1) | instskip(SKIP_1) | instid1(VALU_DEP_1)
	v_add_f32_e32 v63, v64, v63
	v_mul_f32_e32 v64, 0x3f6eb680, v111
	v_add_f32_e32 v64, v64, v139
	s_delay_alu instid0(VALU_DEP_1) | instskip(NEXT) | instid1(VALU_DEP_1)
	v_dual_add_f32 v63, v64, v63 :: v_dual_mul_f32 v64, 0x3ee437d1, v113
	v_add_f32_e32 v64, v64, v141
	s_delay_alu instid0(VALU_DEP_1) | instskip(NEXT) | instid1(VALU_DEP_1)
	v_dual_add_f32 v63, v64, v63 :: v_dual_mul_f32 v64, 0xbf59a7d5, v116
	v_add_f32_e32 v64, v64, v145
	s_delay_alu instid0(VALU_DEP_1) | instskip(SKIP_1) | instid1(VALU_DEP_1)
	v_add_f32_e32 v63, v64, v63
	v_mul_f32_e32 v64, 0xbf1a4643, v119
	v_add_f32_e32 v64, v64, v150
	v_mul_f32_e32 v150, 0xbeb8f4ab, v110
	s_delay_alu instid0(VALU_DEP_2) | instskip(NEXT) | instid1(VALU_DEP_1)
	v_dual_add_f32 v64, v64, v63 :: v_dual_mul_f32 v63, 0x3f3d2fb0, v122
	v_add_f32_e32 v66, v63, v154
	v_add_f32_e32 v63, v65, v62
	v_fma_f32 v65, 0x3dbcf732, v118, -v136
	v_fma_f32 v154, 0x3dbcf732, v124, -v153
	s_delay_alu instid0(VALU_DEP_4) | instskip(SKIP_2) | instid1(VALU_DEP_2)
	v_add_f32_e32 v62, v66, v64
	v_fma_f32 v64, 0x3ee437d1, v114, -v135
	v_fma_f32 v66, 0xbf7ba420, v126, -v140
	v_add_f32_e32 v64, v64, v170
	v_fma_f32 v170, 0x3ee437d1, v122, -v162
	v_fmac_f32_e32 v162, 0x3ee437d1, v122
	s_delay_alu instid0(VALU_DEP_3) | instskip(SKIP_1) | instid1(VALU_DEP_1)
	v_add_f32_e32 v64, v65, v64
	v_fma_f32 v65, 0xbf1a4643, v121, -v137
	v_add_f32_e32 v64, v65, v64
	v_fma_f32 v65, 0x3f6eb680, v124, -v138
	s_delay_alu instid0(VALU_DEP_1) | instskip(NEXT) | instid1(VALU_DEP_1)
	v_dual_add_f32 v64, v65, v64 :: v_dual_mul_f32 v65, 0x3f65296c, v125
	v_add_f32_e32 v64, v66, v64
	s_delay_alu instid0(VALU_DEP_2) | instskip(SKIP_2) | instid1(VALU_DEP_2)
	v_fma_f32 v139, 0x3ee437d1, v107, -v65
	v_fmac_f32_e32 v65, 0x3ee437d1, v107
	v_mul_f32_e32 v66, 0xbf7ee86f, v127
	v_add_f32_e32 v65, v65, v171
	s_delay_alu instid0(VALU_DEP_2) | instskip(SKIP_2) | instid1(VALU_DEP_2)
	v_fma_f32 v141, 0x3dbcf732, v109, -v66
	v_fmac_f32_e32 v66, 0x3dbcf732, v109
	v_mul_f32_e32 v171, 0x3f65296c, v123
	v_add_f32_e32 v65, v66, v65
	v_fma_f32 v66, 0x3f3d2fb0, v128, -v142
	s_delay_alu instid0(VALU_DEP_1) | instskip(SKIP_1) | instid1(VALU_DEP_1)
	v_add_f32_e32 v64, v66, v64
	v_mul_f32_e32 v66, 0x3f4c4adb, v129
	v_fma_f32 v143, 0xbf1a4643, v111, -v66
	v_fmac_f32_e32 v66, 0xbf1a4643, v111
	s_delay_alu instid0(VALU_DEP_1) | instskip(NEXT) | instid1(VALU_DEP_1)
	v_dual_add_f32 v65, v66, v65 :: v_dual_mul_f32 v66, 0xbeb8f4ab, v130
	v_fma_f32 v144, 0x3f6eb680, v113, -v66
	v_fmac_f32_e32 v66, 0x3f6eb680, v113
	s_delay_alu instid0(VALU_DEP_1) | instskip(NEXT) | instid1(VALU_DEP_1)
	v_dual_add_f32 v65, v66, v65 :: v_dual_mul_f32 v66, 0xbe3c28d5, v132
	v_fma_f32 v145, 0xbf7ba420, v116, -v66
	v_fmac_f32_e32 v66, 0xbf7ba420, v116
	s_delay_alu instid0(VALU_DEP_1) | instskip(SKIP_1) | instid1(VALU_DEP_1)
	v_add_f32_e32 v65, v66, v65
	v_mul_f32_e32 v66, 0x3f2c7751, v133
	v_fma_f32 v146, 0x3f3d2fb0, v119, -v66
	v_fmac_f32_e32 v66, 0x3f3d2fb0, v119
	s_delay_alu instid0(VALU_DEP_1) | instskip(SKIP_1) | instid1(VALU_DEP_1)
	v_add_f32_e32 v66, v66, v65
	v_fma_f32 v65, 0xbe8c1d8e, v131, -v148
	v_dual_add_f32 v65, v65, v64 :: v_dual_add_f32 v64, v67, v66
	v_fma_f32 v66, 0xbe8c1d8e, v114, -v149
	v_fma_f32 v67, 0x3f6eb680, v118, -v150
	s_delay_alu instid0(VALU_DEP_2) | instskip(NEXT) | instid1(VALU_DEP_1)
	v_add_f32_e32 v66, v66, v172
	v_add_f32_e32 v66, v67, v66
	v_fma_f32 v67, 0xbf59a7d5, v121, -v151
	s_delay_alu instid0(VALU_DEP_1) | instskip(NEXT) | instid1(VALU_DEP_1)
	v_dual_add_f32 v66, v67, v66 :: v_dual_mul_f32 v67, 0x3f763a35, v125
	v_add_f32_e32 v66, v154, v66
	s_delay_alu instid0(VALU_DEP_2) | instskip(SKIP_1) | instid1(VALU_DEP_1)
	v_fma_f32 v152, 0xbe8c1d8e, v107, -v67
	v_fmac_f32_e32 v67, 0xbe8c1d8e, v107
	v_dual_mul_f32 v154, 0xbeb8f4ab, v127 :: v_dual_add_f32 v67, v67, v173
	s_delay_alu instid0(VALU_DEP_1) | instskip(SKIP_1) | instid1(VALU_DEP_1)
	v_fma_f32 v155, 0x3f6eb680, v109, -v154
	v_fmac_f32_e32 v154, 0x3f6eb680, v109
	v_dual_add_f32 v67, v154, v67 :: v_dual_mul_f32 v154, 0xbf2c7751, v117
	s_delay_alu instid0(VALU_DEP_1) | instskip(NEXT) | instid1(VALU_DEP_1)
	v_fma_f32 v156, 0x3f3d2fb0, v126, -v154
	v_add_f32_e32 v66, v156, v66
	v_mul_f32_e32 v156, 0xbf06c442, v129
	s_delay_alu instid0(VALU_DEP_1) | instskip(SKIP_1) | instid1(VALU_DEP_1)
	v_fma_f32 v157, 0xbf59a7d5, v111, -v156
	v_fmac_f32_e32 v156, 0xbf59a7d5, v111
	v_dual_add_f32 v67, v156, v67 :: v_dual_mul_f32 v156, 0xbe3c28d5, v120
	s_delay_alu instid0(VALU_DEP_1) | instskip(NEXT) | instid1(VALU_DEP_1)
	v_fma_f32 v158, 0xbf7ba420, v128, -v156
	v_add_f32_e32 v66, v158, v66
	v_mul_f32_e32 v158, 0x3f7ee86f, v130
	v_mul_f32_e32 v130, 0xbf4c4adb, v130
	s_delay_alu instid0(VALU_DEP_2) | instskip(SKIP_1) | instid1(VALU_DEP_1)
	v_fma_f32 v159, 0x3dbcf732, v113, -v158
	v_fmac_f32_e32 v158, 0x3dbcf732, v113
	v_dual_add_f32 v67, v158, v67 :: v_dual_mul_f32 v158, 0xbf2c7751, v132
	v_mul_f32_e32 v132, 0x3f65296c, v132
	s_delay_alu instid0(VALU_DEP_2) | instskip(SKIP_1) | instid1(VALU_DEP_1)
	v_fma_f32 v160, 0x3f3d2fb0, v116, -v158
	v_fmac_f32_e32 v158, 0x3f3d2fb0, v116
	v_dual_add_f32 v67, v158, v67 :: v_dual_mul_f32 v158, 0xbe3c28d5, v133
	v_mul_f32_e32 v133, 0xbf763a35, v133
	s_delay_alu instid0(VALU_DEP_2) | instskip(SKIP_1) | instid1(VALU_DEP_1)
	v_fma_f32 v161, 0xbf7ba420, v119, -v158
	v_fmac_f32_e32 v158, 0xbf7ba420, v119
	v_add_f32_e32 v158, v158, v67
	v_fma_f32 v67, 0x3ee437d1, v131, -v171
	s_delay_alu instid0(VALU_DEP_1) | instskip(NEXT) | instid1(VALU_DEP_3)
	v_add_f32_e32 v67, v67, v66
	v_add_f32_e32 v66, v162, v158
	ds_store_2addr_b64 v199, v[62:63], v[60:61] offset0:4 offset1:5
	ds_store_2addr_b64 v199, v[66:67], v[64:65] offset0:6 offset1:7
	v_mul_f32_e32 v62, 0x3eb8f4ab, v108
	v_mul_f32_e32 v63, 0xbf06c442, v110
	;; [unrolled: 1-line block ×5, first 2 shown]
	v_fmamk_f32 v60, v114, 0x3f6eb680, v62
	v_fmamk_f32 v61, v118, 0xbf59a7d5, v63
	v_fma_f32 v62, 0x3f6eb680, v114, -v62
	v_fmamk_f32 v67, v124, 0xbf1a4643, v66
	v_fma_f32 v63, 0xbf59a7d5, v118, -v63
	v_add_f32_e32 v60, v60, v166
	v_mul_f32_e32 v162, 0x3f7ee86f, v123
	v_add_f32_e32 v62, v62, v168
	s_delay_alu instid0(VALU_DEP_3) | instskip(NEXT) | instid1(VALU_DEP_2)
	v_add_f32_e32 v60, v61, v60
	v_dual_fmamk_f32 v61, v121, 0x3f3d2fb0, v64 :: v_dual_add_f32 v62, v63, v62
	v_fma_f32 v64, 0x3f3d2fb0, v121, -v64
	s_delay_alu instid0(VALU_DEP_2) | instskip(SKIP_1) | instid1(VALU_DEP_3)
	v_add_f32_e32 v60, v61, v60
	v_fma_f32 v61, 0x3f6eb680, v107, -v65
	v_dual_fmac_f32 v65, 0x3f6eb680, v107 :: v_dual_add_f32 v62, v64, v62
	v_fma_f32 v64, 0xbf1a4643, v124, -v66
	s_delay_alu instid0(VALU_DEP_4) | instskip(NEXT) | instid1(VALU_DEP_4)
	v_dual_add_f32 v60, v67, v60 :: v_dual_mul_f32 v67, 0xbf06c442, v127
	v_add_f32_e32 v61, v61, v167
	s_delay_alu instid0(VALU_DEP_4) | instskip(SKIP_1) | instid1(VALU_DEP_4)
	v_add_f32_e32 v63, v65, v169
	v_dual_add_f32 v65, v152, v68 :: v_dual_add_f32 v68, v139, v165
	v_fma_f32 v125, 0xbf59a7d5, v109, -v67
	v_dual_fmac_f32 v67, 0xbf59a7d5, v109 :: v_dual_add_f32 v62, v64, v62
	s_delay_alu instid0(VALU_DEP_3) | instskip(NEXT) | instid1(VALU_DEP_3)
	v_dual_fmamk_f32 v66, v118, 0x3f6eb680, v150 :: v_dual_add_f32 v65, v155, v65
	v_add_f32_e32 v61, v125, v61
	v_mul_f32_e32 v125, 0x3f65296c, v117
	s_delay_alu instid0(VALU_DEP_4) | instskip(SKIP_2) | instid1(VALU_DEP_4)
	v_add_f32_e32 v63, v67, v63
	v_fmamk_f32 v67, v118, 0x3dbcf732, v136
	v_add_f32_e32 v65, v157, v65
	v_fmamk_f32 v127, v126, 0x3ee437d1, v125
	v_fma_f32 v64, 0x3ee437d1, v126, -v125
	s_delay_alu instid0(VALU_DEP_3) | instskip(NEXT) | instid1(VALU_DEP_3)
	v_add_f32_e32 v65, v159, v65
	v_dual_add_f32 v60, v127, v60 :: v_dual_mul_f32 v127, 0x3f2c7751, v129
	s_delay_alu instid0(VALU_DEP_3) | instskip(NEXT) | instid1(VALU_DEP_3)
	v_add_f32_e32 v62, v64, v62
	v_add_f32_e32 v65, v160, v65
	s_delay_alu instid0(VALU_DEP_3) | instskip(SKIP_1) | instid1(VALU_DEP_2)
	v_fma_f32 v129, 0x3f3d2fb0, v111, -v127
	v_fmac_f32_e32 v127, 0x3f3d2fb0, v111
	v_add_f32_e32 v61, v129, v61
	v_mul_f32_e32 v129, 0xbf763a35, v120
	s_delay_alu instid0(VALU_DEP_1) | instskip(NEXT) | instid1(VALU_DEP_1)
	v_dual_add_f32 v63, v127, v63 :: v_dual_fmamk_f32 v158, v128, 0xbe8c1d8e, v129
	v_add_f32_e32 v60, v158, v60
	v_fma_f32 v158, 0xbf1a4643, v113, -v130
	v_fmac_f32_e32 v130, 0xbf1a4643, v113
	s_delay_alu instid0(VALU_DEP_2) | instskip(SKIP_1) | instid1(VALU_DEP_3)
	v_add_f32_e32 v61, v158, v61
	v_fma_f32 v158, 0x3ee437d1, v116, -v132
	v_dual_add_f32 v63, v130, v63 :: v_dual_fmac_f32 v132, 0x3ee437d1, v116
	s_delay_alu instid0(VALU_DEP_2) | instskip(SKIP_1) | instid1(VALU_DEP_3)
	v_add_f32_e32 v61, v158, v61
	v_fma_f32 v158, 0xbe8c1d8e, v119, -v133
	v_add_f32_e32 v63, v132, v63
	s_delay_alu instid0(VALU_DEP_2) | instskip(SKIP_1) | instid1(VALU_DEP_1)
	v_dual_fmac_f32 v133, 0xbe8c1d8e, v119 :: v_dual_add_f32 v158, v158, v61
	v_fma_f32 v64, 0xbe8c1d8e, v128, -v129
	v_dual_fmamk_f32 v61, v131, 0x3dbcf732, v162 :: v_dual_add_f32 v62, v64, v62
	s_delay_alu instid0(VALU_DEP_1) | instskip(SKIP_4) | instid1(VALU_DEP_4)
	v_add_f32_e32 v61, v61, v60
	v_fma_f32 v60, 0x3dbcf732, v122, -v134
	v_add_f32_e32 v64, v133, v63
	v_fma_f32 v63, 0x3dbcf732, v131, -v162
	v_fmac_f32_e32 v134, 0x3dbcf732, v122
	v_add_f32_e32 v60, v60, v158
	s_delay_alu instid0(VALU_DEP_2) | instskip(SKIP_1) | instid1(VALU_DEP_1)
	v_dual_add_f32 v63, v63, v62 :: v_dual_add_f32 v62, v134, v64
	v_fmamk_f32 v64, v114, 0xbe8c1d8e, v149
	v_add_f32_e32 v64, v64, v163
	s_delay_alu instid0(VALU_DEP_1) | instskip(SKIP_1) | instid1(VALU_DEP_1)
	v_add_f32_e32 v64, v66, v64
	v_fmamk_f32 v66, v121, 0xbf59a7d5, v151
	v_add_f32_e32 v64, v66, v64
	v_fmamk_f32 v66, v124, 0x3dbcf732, v153
	s_delay_alu instid0(VALU_DEP_1) | instskip(SKIP_1) | instid1(VALU_DEP_1)
	v_add_f32_e32 v64, v66, v64
	v_fmamk_f32 v66, v126, 0x3f3d2fb0, v154
	v_add_f32_e32 v64, v66, v64
	v_fmamk_f32 v66, v128, 0xbf7ba420, v156
	s_delay_alu instid0(VALU_DEP_1) | instskip(SKIP_1) | instid1(VALU_DEP_1)
	v_add_f32_e32 v64, v66, v64
	v_dual_add_f32 v66, v161, v65 :: v_dual_fmamk_f32 v65, v131, 0x3ee437d1, v171
	v_dual_add_f32 v65, v65, v64 :: v_dual_add_f32 v64, v170, v66
	v_fmamk_f32 v66, v114, 0x3ee437d1, v135
	s_delay_alu instid0(VALU_DEP_1) | instskip(NEXT) | instid1(VALU_DEP_1)
	v_add_f32_e32 v66, v66, v164
	v_dual_add_f32 v66, v67, v66 :: v_dual_fmamk_f32 v67, v121, 0xbf1a4643, v137
	s_delay_alu instid0(VALU_DEP_1) | instskip(NEXT) | instid1(VALU_DEP_1)
	v_dual_add_f32 v66, v67, v66 :: v_dual_add_f32 v67, v141, v68
	v_dual_fmamk_f32 v68, v124, 0x3f6eb680, v138 :: v_dual_add_f32 v67, v143, v67
	s_delay_alu instid0(VALU_DEP_1) | instskip(NEXT) | instid1(VALU_DEP_2)
	v_add_f32_e32 v66, v68, v66
	v_dual_fmamk_f32 v68, v126, 0xbf7ba420, v140 :: v_dual_add_f32 v67, v144, v67
	s_delay_alu instid0(VALU_DEP_1) | instskip(NEXT) | instid1(VALU_DEP_2)
	v_add_f32_e32 v66, v68, v66
	v_dual_fmamk_f32 v68, v128, 0x3f3d2fb0, v142 :: v_dual_add_f32 v67, v145, v67
	s_delay_alu instid0(VALU_DEP_1) | instskip(SKIP_1) | instid1(VALU_DEP_1)
	v_add_f32_e32 v66, v68, v66
	v_fmamk_f32 v68, v131, 0xbe8c1d8e, v148
	v_dual_add_f32 v114, v146, v67 :: v_dual_add_f32 v67, v68, v66
	v_fma_f32 v68, 0xbf1a4643, v107, -v181
	s_delay_alu instid0(VALU_DEP_2) | instskip(NEXT) | instid1(VALU_DEP_2)
	v_add_f32_e32 v66, v147, v114
	v_add_f32_e32 v58, v68, v58
	v_fma_f32 v68, 0xbf7ba420, v109, -v182
	s_delay_alu instid0(VALU_DEP_1) | instskip(SKIP_1) | instid1(VALU_DEP_1)
	v_add_f32_e32 v58, v68, v58
	v_fma_f32 v68, 0xbe8c1d8e, v111, -v183
	v_add_f32_e32 v58, v68, v58
	v_fma_f32 v68, 0x3f3d2fb0, v113, -v184
	s_delay_alu instid0(VALU_DEP_1) | instskip(SKIP_1) | instid1(VALU_DEP_1)
	v_add_f32_e32 v58, v68, v58
	v_fma_f32 v68, 0x3f6eb680, v116, -v185
	v_add_f32_e32 v58, v68, v58
	v_fma_f32 v68, 0x3dbcf732, v119, -v186
	s_delay_alu instid0(VALU_DEP_1) | instskip(SKIP_1) | instid1(VALU_DEP_1)
	v_add_f32_e32 v58, v68, v58
	v_fma_f32 v68, 0xbf59a7d5, v122, -v188
	v_add_f32_e32 v58, v68, v58
	v_fma_f32 v68, 0x3dbcf732, v107, -v194
	s_delay_alu instid0(VALU_DEP_1) | instskip(SKIP_1) | instid1(VALU_DEP_1)
	v_add_f32_e32 v51, v68, v51
	v_fma_f32 v68, 0xbf1a4643, v109, -v70
	v_add_f32_e32 v51, v68, v51
	v_fma_f32 v68, 0xbf7ba420, v111, -v195
	s_delay_alu instid0(VALU_DEP_1) | instskip(SKIP_1) | instid1(VALU_DEP_1)
	v_add_f32_e32 v51, v68, v51
	v_fma_f32 v68, 0xbf59a7d5, v113, -v196
	v_add_f32_e32 v51, v68, v51
	v_fma_f32 v68, 0xbe8c1d8e, v116, -v197
	s_delay_alu instid0(VALU_DEP_1) | instskip(SKIP_1) | instid1(VALU_DEP_1)
	v_add_f32_e32 v51, v68, v51
	v_fma_f32 v68, 0x3ee437d1, v119, -v198
	v_add_f32_e32 v51, v68, v51
	v_fma_f32 v68, 0x3f6eb680, v122, -v201
	s_delay_alu instid0(VALU_DEP_1) | instskip(SKIP_1) | instid1(VALU_DEP_1)
	v_add_f32_e32 v68, v68, v51
	v_fma_f32 v51, 0x3f3d2fb0, v107, -v52
	v_add_f32_e32 v1, v51, v1
	s_delay_alu instid0(VALU_DEP_1) | instskip(NEXT) | instid1(VALU_DEP_1)
	v_add_f32_e32 v1, v47, v1
	v_add_f32_e32 v1, v46, v1
	s_delay_alu instid0(VALU_DEP_1) | instskip(NEXT) | instid1(VALU_DEP_1)
	v_add_f32_e32 v1, v44, v1
	v_add_f32_e32 v1, v3, v1
	v_fma_f32 v3, 0xbf7ba420, v122, -v54
	s_delay_alu instid0(VALU_DEP_2) | instskip(NEXT) | instid1(VALU_DEP_1)
	v_dual_add_f32 v2, v2, v1 :: v_dual_add_f32 v1, v48, v0
	v_add_f32_e32 v0, v3, v2
	ds_store_2addr_b64 v199, v[62:63], v[60:61] offset0:8 offset1:9
	ds_store_2addr_b64 v199, v[66:67], v[64:65] offset0:10 offset1:11
	;; [unrolled: 1-line block ×4, first 2 shown]
	ds_store_b64 v199, v[0:1] offset:128
.LBB0_17:
	s_wait_alu 0xfffe
	s_or_b32 exec_lo, exec_lo, s1
	v_add_nc_u32_e32 v0, 0x1400, v97
	global_wb scope:SCOPE_SE
	s_wait_dscnt 0x0
	s_barrier_signal -1
	s_barrier_wait -1
	global_inv scope:SCOPE_SE
	ds_load_2addr_b64 v[0:3], v0 offset0:74 offset1:193
	v_add_nc_u32_e32 v46, 0x1c00, v97
	s_wait_dscnt 0x0
	v_dual_mul_f32 v67, v82, v2 :: v_dual_add_nc_u32 v44, 0x2400, v97
	v_mul_f32_e32 v45, v80, v0
	ds_load_2addr_b64 v[47:50], v46 offset0:56 offset1:175
	ds_load_2addr_b64 v[51:54], v44 offset0:38 offset1:157
	v_add_nc_u32_e32 v44, 0x400, v97
	v_add_nc_u32_e32 v71, 0xc00, v97
	v_mul_f32_e32 v69, v82, v3
	s_wait_dscnt 0x1
	s_delay_alu instid0(VALU_DEP_1)
	v_dual_fmac_f32 v69, v81, v2 :: v_dual_mul_f32 v70, v84, v48
	v_mul_f32_e32 v73, v86, v50
	ds_load_2addr_b64 v[55:58], v97 offset1:119
	ds_load_2addr_b64 v[59:62], v44 offset0:110 offset1:229
	ds_load_2addr_b64 v[63:66], v71 offset0:92 offset1:211
	v_mul_f32_e32 v44, v80, v1
	v_mul_f32_e32 v68, v84, v47
	;; [unrolled: 1-line block ×3, first 2 shown]
	v_fmac_f32_e32 v73, v85, v49
	global_wb scope:SCOPE_SE
	s_wait_dscnt 0x0
	v_fmac_f32_e32 v44, v79, v0
	v_fma_f32 v0, v79, v1, -v45
	v_mul_f32_e32 v45, v78, v51
	v_fma_f32 v1, v81, v3, -v67
	v_dual_fmac_f32 v70, v83, v47 :: v_dual_mul_f32 v47, v76, v54
	v_mul_f32_e32 v80, v78, v52
	v_fma_f32 v2, v83, v48, -v68
	v_fma_f32 v3, v85, v50, -v74
	s_barrier_signal -1
	s_delay_alu instid0(VALU_DEP_3)
	v_dual_fmac_f32 v47, v75, v53 :: v_dual_fmac_f32 v80, v77, v51
	v_sub_f32_e32 v67, v55, v44
	v_fma_f32 v44, v77, v52, -v45
	v_sub_f32_e32 v68, v56, v0
	v_sub_f32_e32 v0, v61, v73
	s_barrier_wait -1
	v_fma_f32 v52, v55, 2.0, -v67
	v_sub_f32_e32 v55, v58, v1
	v_dual_sub_f32 v1, v62, v3 :: v_dual_mul_f32 v48, v76, v53
	v_sub_f32_e32 v49, v64, v44
	v_fma_f32 v53, v56, 2.0, -v68
	v_dual_sub_f32 v44, v65, v47 :: v_dual_add_nc_u32 v47, 0x1800, v97
	s_delay_alu instid0(VALU_DEP_4) | instskip(SKIP_2) | instid1(VALU_DEP_3)
	v_fma_f32 v45, v75, v54, -v48
	v_dual_sub_f32 v54, v57, v69 :: v_dual_sub_f32 v69, v59, v70
	v_sub_f32_e32 v70, v60, v2
	v_dual_sub_f32 v48, v63, v80 :: v_dual_sub_f32 v45, v66, v45
	s_delay_alu instid0(VALU_DEP_3)
	v_fma_f32 v56, v57, 2.0, -v54
	v_fma_f32 v57, v58, 2.0, -v55
	;; [unrolled: 1-line block ×10, first 2 shown]
	global_inv scope:SCOPE_SE
	ds_store_2addr_b64 v102, v[52:53], v[67:68] offset1:17
	ds_store_2addr_b64 v103, v[56:57], v[54:55] offset1:17
	;; [unrolled: 1-line block ×6, first 2 shown]
	global_wb scope:SCOPE_SE
	s_wait_dscnt 0x0
	s_barrier_signal -1
	s_barrier_wait -1
	global_inv scope:SCOPE_SE
	ds_load_2addr_b64 v[52:55], v97 offset1:204
	ds_load_2addr_b64 v[60:63], v71 offset0:24 offset1:228
	ds_load_2addr_b64 v[56:59], v47 offset0:48 offset1:252
	ds_load_b64 v[64:65], v97 offset:9792
	s_and_saveexec_b32 s1, s0
	s_cbranch_execz .LBB0_19
; %bb.18:
	ds_load_2addr_b64 v[44:47], v46 offset0:39 offset1:243
	v_add_nc_u32_e32 v0, 0x300, v97
	s_wait_dscnt 0x0
	v_dual_mov_b32 v91, v46 :: v_dual_add_nc_u32 v48, 0x1000, v97
	ds_load_b64 v[93:94], v97 offset:10744
	ds_load_2addr_b64 v[0:3], v0 offset0:23 offset1:227
	ds_load_2addr_b64 v[48:51], v48 offset0:15 offset1:219
	v_mov_b32_e32 v92, v47
.LBB0_19:
	s_wait_alu 0xfffe
	s_or_b32 exec_lo, exec_lo, s1
	s_wait_dscnt 0x2
	v_dual_mul_f32 v46, v25, v55 :: v_dual_mul_f32 v47, v27, v61
	v_mul_f32_e32 v25, v25, v54
	v_mul_f32_e32 v27, v27, v60
	global_wb scope:SCOPE_SE
	s_wait_dscnt 0x0
	v_fmac_f32_e32 v46, v24, v54
	v_mul_f32_e32 v54, v23, v57
	v_fma_f32 v24, v24, v55, -v25
	v_fmac_f32_e32 v47, v26, v60
	v_fma_f32 v26, v26, v61, -v27
	v_mul_f32_e32 v27, v17, v59
	v_mul_f32_e32 v17, v17, v58
	v_dual_mul_f32 v25, v21, v63 :: v_dual_fmac_f32 v54, v22, v56
	s_barrier_signal -1
	s_delay_alu instid0(VALU_DEP_3) | instskip(NEXT) | instid1(VALU_DEP_3)
	v_fmac_f32_e32 v27, v16, v58
	v_fma_f32 v16, v16, v59, -v17
	v_mul_f32_e32 v21, v21, v62
	v_fmac_f32_e32 v25, v20, v62
	s_barrier_wait -1
	global_inv scope:SCOPE_SE
	v_fma_f32 v20, v20, v63, -v21
	v_mul_f32_e32 v21, v19, v65
	v_mul_f32_e32 v19, v19, v64
	;; [unrolled: 1-line block ×3, first 2 shown]
	s_delay_alu instid0(VALU_DEP_3) | instskip(NEXT) | instid1(VALU_DEP_3)
	v_fmac_f32_e32 v21, v18, v64
	v_fma_f32 v18, v18, v65, -v19
	s_delay_alu instid0(VALU_DEP_3) | instskip(NEXT) | instid1(VALU_DEP_2)
	v_fma_f32 v19, v22, v57, -v23
	v_add_f32_e32 v22, v24, v18
	v_dual_sub_f32 v18, v24, v18 :: v_dual_add_f32 v23, v47, v27
	v_add_f32_e32 v24, v26, v16
	v_sub_f32_e32 v16, v26, v16
	v_dual_add_f32 v26, v25, v54 :: v_dual_sub_f32 v25, v54, v25
	v_add_f32_e32 v17, v46, v21
	s_delay_alu instid0(VALU_DEP_1) | instskip(SKIP_3) | instid1(VALU_DEP_1)
	v_dual_sub_f32 v55, v24, v22 :: v_dual_sub_f32 v54, v23, v17
	v_dual_sub_f32 v21, v46, v21 :: v_dual_add_f32 v46, v20, v19
	v_sub_f32_e32 v19, v19, v20
	v_add_f32_e32 v20, v23, v17
	v_dual_add_f32 v20, v26, v20 :: v_dual_sub_f32 v27, v47, v27
	v_add_f32_e32 v47, v24, v22
	v_sub_f32_e32 v22, v22, v46
	v_sub_f32_e32 v23, v26, v23
	;; [unrolled: 1-line block ×5, first 2 shown]
	v_dual_add_f32 v26, v46, v47 :: v_dual_add_f32 v57, v19, v16
	v_sub_f32_e32 v59, v19, v16
	v_dual_sub_f32 v19, v18, v19 :: v_dual_sub_f32 v46, v16, v18
	v_add_f32_e32 v16, v52, v20
	v_mul_f32_e32 v47, 0x3f4a47b2, v56
	v_mul_f32_e32 v52, 0x3d64c772, v23
	v_mul_f32_e32 v56, 0x3f08b237, v58
	v_add_f32_e32 v18, v57, v18
	v_dual_add_f32 v17, v25, v27 :: v_dual_mul_f32 v22, 0x3f4a47b2, v22
	v_sub_f32_e32 v25, v21, v25
	v_dual_sub_f32 v27, v27, v21 :: v_dual_fmamk_f32 v20, v20, 0xbf955555, v16
	v_fmamk_f32 v23, v23, 0x3d64c772, v47
	s_delay_alu instid0(VALU_DEP_4) | instskip(SKIP_4) | instid1(VALU_DEP_3)
	v_add_f32_e32 v21, v17, v21
	v_fma_f32 v52, 0x3f3bfb3b, v54, -v52
	v_add_f32_e32 v17, v53, v26
	v_fma_f32 v47, 0xbf3bfb3b, v54, -v47
	v_mul_f32_e32 v57, 0x3f08b237, v59
	v_fmamk_f32 v26, v26, 0xbf955555, v17
	v_fmamk_f32 v54, v25, 0xbeae86e6, v56
	v_mul_f32_e32 v58, 0xbf5ff5aa, v27
	v_fma_f32 v27, 0xbf5ff5aa, v27, -v56
	v_add_f32_e32 v47, v47, v20
	v_mul_f32_e32 v59, 0xbf5ff5aa, v46
	v_fma_f32 v46, 0xbf5ff5aa, v46, -v57
	v_fma_f32 v56, 0x3eae86e6, v25, -v58
	v_add_f32_e32 v58, v23, v20
	v_dual_mul_f32 v53, 0x3d64c772, v24 :: v_dual_fmamk_f32 v24, v24, 0x3d64c772, v22
	v_fma_f32 v22, 0xbf3bfb3b, v55, -v22
	v_fmac_f32_e32 v54, 0xbee1c552, v21
	v_fmac_f32_e32 v46, 0xbee1c552, v18
	s_delay_alu instid0(VALU_DEP_4) | instskip(SKIP_3) | instid1(VALU_DEP_4)
	v_fma_f32 v53, 0x3f3bfb3b, v55, -v53
	v_fmamk_f32 v55, v19, 0xbeae86e6, v57
	v_fma_f32 v57, 0x3eae86e6, v19, -v59
	v_add_f32_e32 v59, v24, v26
	v_dual_add_f32 v24, v52, v20 :: v_dual_add_f32 v25, v53, v26
	s_delay_alu instid0(VALU_DEP_3)
	v_dual_fmac_f32 v56, 0xbee1c552, v21 :: v_dual_fmac_f32 v57, 0xbee1c552, v18
	v_fmac_f32_e32 v55, 0xbee1c552, v18
	v_add_f32_e32 v52, v22, v26
	v_sub_f32_e32 v19, v59, v54
	v_sub_f32_e32 v22, v24, v46
	v_sub_f32_e32 v26, v47, v57
	v_dual_fmac_f32 v27, 0xbee1c552, v21 :: v_dual_add_f32 v18, v55, v58
	v_dual_add_f32 v20, v57, v47 :: v_dual_sub_f32 v21, v52, v56
	v_add_f32_e32 v24, v46, v24
	s_delay_alu instid0(VALU_DEP_3)
	v_dual_sub_f32 v46, v58, v55 :: v_dual_add_f32 v23, v27, v25
	v_sub_f32_e32 v25, v25, v27
	v_add_f32_e32 v27, v56, v52
	v_add_f32_e32 v47, v54, v59
	ds_store_2addr_b64 v106, v[16:17], v[18:19] offset1:34
	ds_store_2addr_b64 v106, v[20:21], v[22:23] offset0:68 offset1:102
	ds_store_2addr_b64 v106, v[24:25], v[26:27] offset0:136 offset1:170
	ds_store_b64 v106, v[46:47] offset:1632
	s_and_saveexec_b32 s1, s0
	s_cbranch_execz .LBB0_21
; %bb.20:
	v_dual_mul_f32 v18, v13, v3 :: v_dual_mul_f32 v19, v11, v94
	v_mul_f32_e32 v11, v11, v93
	v_dual_mul_f32 v16, v7, v45 :: v_dual_mul_f32 v17, v5, v51
	s_delay_alu instid0(VALU_DEP_3) | instskip(SKIP_4) | instid1(VALU_DEP_4)
	v_dual_fmac_f32 v18, v12, v2 :: v_dual_fmac_f32 v19, v10, v93
	v_mul_f32_e32 v2, v13, v2
	v_dual_mul_f32 v20, v15, v49 :: v_dual_mul_f32 v13, v9, v92
	v_fma_f32 v10, v10, v94, -v11
	v_mul_f32_e32 v11, v15, v48
	v_fma_f32 v2, v12, v3, -v2
	v_sub_f32_e32 v12, v18, v19
	v_mul_f32_e32 v9, v9, v91
	v_mul_f32_e32 v3, v5, v50
	;; [unrolled: 1-line block ×3, first 2 shown]
	v_dual_fmac_f32 v16, v6, v44 :: v_dual_fmac_f32 v17, v4, v50
	v_dual_fmac_f32 v13, v8, v91 :: v_dual_fmac_f32 v20, v14, v48
	s_delay_alu instid0(VALU_DEP_3)
	v_fma_f32 v5, v6, v45, -v5
	v_add_f32_e32 v6, v10, v2
	v_fma_f32 v7, v8, v92, -v9
	v_fma_f32 v9, v14, v49, -v11
	v_dual_sub_f32 v21, v16, v17 :: v_dual_add_f32 v18, v19, v18
	v_add_f32_e32 v16, v16, v17
	v_sub_f32_e32 v2, v2, v10
	s_delay_alu instid0(VALU_DEP_4) | instskip(SKIP_2) | instid1(VALU_DEP_2)
	v_add_f32_e32 v8, v7, v9
	v_fma_f32 v4, v4, v51, -v3
	v_sub_f32_e32 v23, v12, v21
	v_dual_add_f32 v14, v8, v6 :: v_dual_add_f32 v3, v5, v4
	v_sub_f32_e32 v4, v5, v4
	s_delay_alu instid0(VALU_DEP_2) | instskip(SKIP_2) | instid1(VALU_DEP_3)
	v_dual_sub_f32 v5, v9, v7 :: v_dual_add_f32 v14, v3, v14
	v_dual_sub_f32 v11, v20, v13 :: v_dual_sub_f32 v22, v6, v3
	v_dual_add_f32 v13, v13, v20 :: v_dual_sub_f32 v6, v8, v6
	v_sub_f32_e32 v10, v4, v5
	s_delay_alu instid0(VALU_DEP_3) | instskip(NEXT) | instid1(VALU_DEP_3)
	v_mul_f32_e32 v22, 0x3f4a47b2, v22
	v_add_f32_e32 v20, v13, v18
	v_add_f32_e32 v1, v1, v14
	s_delay_alu instid0(VALU_DEP_4) | instskip(NEXT) | instid1(VALU_DEP_2)
	v_dual_sub_f32 v15, v21, v11 :: v_dual_mul_f32 v10, 0x3f08b237, v10
	v_dual_sub_f32 v7, v16, v13 :: v_dual_fmamk_f32 v14, v14, 0xbf955555, v1
	s_delay_alu instid0(VALU_DEP_2) | instskip(SKIP_4) | instid1(VALU_DEP_4)
	v_mul_f32_e32 v15, 0x3f08b237, v15
	v_add_f32_e32 v21, v21, v11
	v_sub_f32_e32 v11, v11, v12
	v_sub_f32_e32 v19, v18, v16
	v_add_f32_e32 v16, v16, v20
	v_dual_fmamk_f32 v24, v23, 0xbeae86e6, v15 :: v_dual_add_f32 v21, v21, v12
	v_sub_f32_e32 v3, v3, v8
	v_sub_f32_e32 v12, v2, v4
	s_delay_alu instid0(VALU_DEP_4)
	v_add_f32_e32 v0, v0, v16
	v_add_f32_e32 v4, v4, v5
	v_fmac_f32_e32 v24, 0xbee1c552, v21
	v_fmamk_f32 v25, v3, 0x3d64c772, v22
	v_mul_f32_e32 v17, 0x3d64c772, v3
	v_fmamk_f32 v8, v16, 0xbf955555, v0
	v_mul_f32_e32 v20, 0xbf5ff5aa, v11
	v_mul_f32_e32 v9, 0x3f4a47b2, v19
	v_dual_add_f32 v25, v25, v14 :: v_dual_fmamk_f32 v16, v12, 0xbeae86e6, v10
	v_fma_f32 v22, 0xbf3bfb3b, v6, -v22
	s_delay_alu instid0(VALU_DEP_4) | instskip(SKIP_1) | instid1(VALU_DEP_4)
	v_fma_f32 v20, 0x3eae86e6, v23, -v20
	v_sub_f32_e32 v23, v5, v2
	v_add_f32_e32 v3, v24, v25
	v_dual_mul_f32 v19, 0x3d64c772, v7 :: v_dual_add_f32 v2, v4, v2
	v_fmamk_f32 v7, v7, 0x3d64c772, v9
	v_dual_sub_f32 v13, v13, v18 :: v_dual_fmac_f32 v20, 0xbee1c552, v21
	v_add_f32_e32 v18, v22, v14
	v_mul_f32_e32 v4, 0xbf5ff5aa, v23
	s_delay_alu instid0(VALU_DEP_3) | instskip(SKIP_1) | instid1(VALU_DEP_4)
	v_fma_f32 v9, 0xbf3bfb3b, v13, -v9
	v_fmac_f32_e32 v16, 0xbee1c552, v2
	v_add_f32_e32 v5, v20, v18
	s_delay_alu instid0(VALU_DEP_4) | instskip(SKIP_4) | instid1(VALU_DEP_4)
	v_fma_f32 v26, 0x3eae86e6, v12, -v4
	v_fma_f32 v4, 0x3f3bfb3b, v6, -v17
	v_add_f32_e32 v27, v9, v8
	v_fma_f32 v6, 0xbf5ff5aa, v11, -v15
	v_fma_f32 v15, 0xbf5ff5aa, v23, -v10
	v_dual_add_f32 v22, v7, v8 :: v_dual_add_f32 v9, v4, v14
	v_fma_f32 v7, 0x3f3bfb3b, v13, -v19
	s_delay_alu instid0(VALU_DEP_3) | instskip(SKIP_2) | instid1(VALU_DEP_3)
	v_dual_fmac_f32 v6, 0xbee1c552, v21 :: v_dual_fmac_f32 v15, 0xbee1c552, v2
	v_fmac_f32_e32 v26, 0xbee1c552, v2
	v_and_b32_e32 v2, 0xffff, v99
	v_dual_add_f32 v14, v7, v8 :: v_dual_sub_f32 v7, v9, v6
	v_dual_sub_f32 v13, v25, v24 :: v_dual_add_f32 v12, v16, v22
	s_delay_alu instid0(VALU_DEP_3) | instskip(NEXT) | instid1(VALU_DEP_3)
	v_mul_u32_u24_e32 v2, 0xee, v2
	v_sub_f32_e32 v8, v14, v15
	v_dual_add_f32 v9, v6, v9 :: v_dual_sub_f32 v4, v27, v26
	v_sub_f32_e32 v11, v18, v20
	s_delay_alu instid0(VALU_DEP_4)
	v_add_lshl_u32 v17, v2, v98, 3
	v_add_f32_e32 v10, v26, v27
	v_add_f32_e32 v6, v15, v14
	v_sub_f32_e32 v2, v22, v16
	ds_store_2addr_b64 v17, v[0:1], v[12:13] offset1:34
	ds_store_2addr_b64 v17, v[10:11], v[8:9] offset0:68 offset1:102
	ds_store_2addr_b64 v17, v[6:7], v[4:5] offset0:136 offset1:170
	ds_store_b64 v17, v[2:3] offset:1632
.LBB0_21:
	s_wait_alu 0xfffe
	s_or_b32 exec_lo, exec_lo, s1
	v_add_nc_u32_e32 v24, 0x400, v97
	v_add_nc_u32_e32 v25, 0xc00, v97
	global_wb scope:SCOPE_SE
	s_wait_dscnt 0x0
	s_barrier_signal -1
	s_barrier_wait -1
	global_inv scope:SCOPE_SE
	ds_load_2addr_b64 v[0:3], v24 offset0:110 offset1:229
	ds_load_2addr_b64 v[4:7], v25 offset0:92 offset1:211
	v_add_nc_u32_e32 v26, 0x1400, v97
	v_add_nc_u32_e32 v27, 0x1c00, v97
	;; [unrolled: 1-line block ×3, first 2 shown]
	s_wait_dscnt 0x1
	v_mul_f32_e32 v45, v37, v1
	s_wait_dscnt 0x0
	v_mul_f32_e32 v46, v39, v5
	v_mul_f32_e32 v39, v39, v4
	ds_load_2addr_b64 v[8:11], v26 offset0:74 offset1:193
	ds_load_2addr_b64 v[12:15], v27 offset0:56 offset1:175
	;; [unrolled: 1-line block ×3, first 2 shown]
	ds_load_2addr_b64 v[20:23], v97 offset1:119
	v_mul_f32_e32 v37, v37, v0
	s_wait_dscnt 0x3
	v_mul_f32_e32 v47, v33, v9
	s_wait_dscnt 0x2
	v_dual_mul_f32 v48, v35, v13 :: v_dual_mul_f32 v33, v33, v8
	v_mul_f32_e32 v35, v35, v12
	s_wait_dscnt 0x1
	v_mul_f32_e32 v49, v90, v17
	v_fmac_f32_e32 v47, v32, v8
	v_fmac_f32_e32 v48, v34, v12
	v_dual_mul_f32 v12, v43, v7 :: v_dual_fmac_f32 v45, v36, v0
	v_fmac_f32_e32 v46, v38, v4
	v_fma_f32 v4, v32, v9, -v33
	v_mul_f32_e32 v32, v31, v15
	s_delay_alu instid0(VALU_DEP_4)
	v_fmac_f32_e32 v12, v42, v6
	v_fma_f32 v8, v34, v13, -v35
	v_mul_f32_e32 v13, v41, v3
	v_fma_f32 v0, v36, v1, -v37
	v_fmac_f32_e32 v32, v30, v14
	v_fma_f32 v1, v38, v5, -v39
	v_mul_f32_e32 v5, v90, v16
	v_mul_f32_e32 v9, v41, v2
	v_fmac_f32_e32 v13, v40, v2
	v_dual_mul_f32 v2, v43, v6 :: v_dual_fmac_f32 v49, v89, v16
	s_wait_dscnt 0x0
	v_add_f32_e32 v6, v20, v46
	v_fma_f32 v5, v89, v17, -v5
	v_fma_f32 v16, v40, v3, -v9
	v_mul_f32_e32 v17, v29, v11
	v_mul_f32_e32 v3, v29, v10
	v_fma_f32 v29, v42, v7, -v2
	v_mul_f32_e32 v2, v31, v14
	s_delay_alu instid0(VALU_DEP_4) | instskip(SKIP_1) | instid1(VALU_DEP_3)
	v_dual_add_f32 v6, v6, v48 :: v_dual_fmac_f32 v17, v28, v10
	v_add_f32_e32 v10, v45, v47
	v_fma_f32 v14, v30, v15, -v2
	v_add_f32_e32 v2, v46, v48
	s_delay_alu instid0(VALU_DEP_3) | instskip(NEXT) | instid1(VALU_DEP_2)
	v_add_f32_e32 v10, v10, v49
	v_fma_f32 v7, -0.5, v2, v20
	v_sub_f32_e32 v2, v1, v8
	s_delay_alu instid0(VALU_DEP_1) | instskip(SKIP_4) | instid1(VALU_DEP_2)
	v_fmamk_f32 v9, v2, 0xbf5db3d7, v7
	v_dual_fmac_f32 v7, 0x3f5db3d7, v2 :: v_dual_add_f32 v2, v4, v5
	v_fma_f32 v28, v28, v11, -v3
	v_mul_f32_e32 v3, v88, v18
	v_mul_f32_e32 v31, v88, v19
	v_fma_f32 v15, v87, v19, -v3
	v_add_f32_e32 v3, v1, v8
	v_add_f32_e32 v1, v21, v1
	s_delay_alu instid0(VALU_DEP_4) | instskip(NEXT) | instid1(VALU_DEP_3)
	v_fmac_f32_e32 v31, v87, v18
	v_fma_f32 v11, -0.5, v3, v21
	v_sub_f32_e32 v3, v46, v48
	s_delay_alu instid0(VALU_DEP_4) | instskip(SKIP_4) | instid1(VALU_DEP_4)
	v_add_f32_e32 v18, v1, v8
	v_add_f32_e32 v8, v0, v4
	v_fmac_f32_e32 v0, -0.5, v2
	v_sub_f32_e32 v2, v47, v49
	v_fmamk_f32 v19, v3, 0x3f5db3d7, v11
	v_dual_fmac_f32 v11, 0xbf5db3d7, v3 :: v_dual_add_f32 v30, v8, v5
	s_delay_alu instid0(VALU_DEP_3) | instskip(SKIP_1) | instid1(VALU_DEP_2)
	v_fmamk_f32 v3, v2, 0x3f5db3d7, v0
	v_fmac_f32_e32 v0, 0xbf5db3d7, v2
	v_dual_mul_f32 v20, 0xbf5db3d7, v3 :: v_dual_add_f32 v1, v47, v49
	s_delay_alu instid0(VALU_DEP_2) | instskip(SKIP_2) | instid1(VALU_DEP_4)
	v_mul_f32_e32 v21, 0xbf5db3d7, v0
	v_mul_f32_e32 v34, -0.5, v0
	v_add_f32_e32 v0, v6, v10
	v_dual_sub_f32 v6, v6, v10 :: v_dual_fmac_f32 v45, -0.5, v1
	v_sub_f32_e32 v1, v4, v5
	s_delay_alu instid0(VALU_DEP_1) | instskip(NEXT) | instid1(VALU_DEP_1)
	v_fmamk_f32 v2, v1, 0xbf5db3d7, v45
	v_fmac_f32_e32 v20, 0.5, v2
	s_delay_alu instid0(VALU_DEP_1) | instskip(NEXT) | instid1(VALU_DEP_1)
	v_dual_sub_f32 v8, v9, v20 :: v_dual_mul_f32 v33, 0.5, v3
	v_dual_fmac_f32 v33, 0x3f5db3d7, v2 :: v_dual_add_f32 v2, v9, v20
	v_dual_fmac_f32 v45, 0x3f5db3d7, v1 :: v_dual_add_f32 v20, v29, v14
	s_delay_alu instid0(VALU_DEP_1) | instskip(SKIP_1) | instid1(VALU_DEP_4)
	v_fmac_f32_e32 v21, -0.5, v45
	v_dual_add_f32 v1, v18, v30 :: v_dual_fmac_f32 v34, 0x3f5db3d7, v45
	v_add_f32_e32 v3, v19, v33
	s_delay_alu instid0(VALU_DEP_3) | instskip(SKIP_1) | instid1(VALU_DEP_4)
	v_add_f32_e32 v4, v7, v21
	v_dual_sub_f32 v10, v7, v21 :: v_dual_sub_f32 v7, v18, v30
	v_dual_add_f32 v18, v12, v32 :: v_dual_add_f32 v5, v11, v34
	s_delay_alu instid0(VALU_DEP_1) | instskip(SKIP_3) | instid1(VALU_DEP_3)
	v_fma_f32 v21, -0.5, v18, v22
	v_dual_sub_f32 v18, v29, v14 :: v_dual_sub_f32 v9, v19, v33
	v_dual_add_f32 v19, v22, v12 :: v_dual_add_f32 v22, v23, v29
	v_fmac_f32_e32 v23, -0.5, v20
	v_fmamk_f32 v20, v18, 0xbf5db3d7, v21
	v_dual_fmac_f32 v21, 0x3f5db3d7, v18 :: v_dual_add_f32 v18, v28, v15
	s_delay_alu instid0(VALU_DEP_4)
	v_add_f32_e32 v19, v19, v32
	v_dual_sub_f32 v12, v12, v32 :: v_dual_add_f32 v29, v22, v14
	v_add_f32_e32 v14, v17, v31
	v_add_f32_e32 v22, v16, v28
	v_fmac_f32_e32 v16, -0.5, v18
	v_sub_f32_e32 v18, v17, v31
	v_add_f32_e32 v17, v13, v17
	v_dual_sub_f32 v11, v11, v34 :: v_dual_fmamk_f32 v30, v12, 0x3f5db3d7, v23
	v_dual_fmac_f32 v13, -0.5, v14 :: v_dual_sub_f32 v14, v28, v15
	v_fmac_f32_e32 v23, 0xbf5db3d7, v12
	v_fmamk_f32 v12, v18, 0x3f5db3d7, v16
	v_fmac_f32_e32 v16, 0xbf5db3d7, v18
	s_delay_alu instid0(VALU_DEP_4) | instskip(SKIP_1) | instid1(VALU_DEP_3)
	v_dual_add_f32 v18, v17, v31 :: v_dual_fmamk_f32 v17, v14, 0xbf5db3d7, v13
	v_dual_fmac_f32 v13, 0x3f5db3d7, v14 :: v_dual_add_f32 v32, v22, v15
	v_mul_f32_e32 v31, 0xbf5db3d7, v16
	v_mul_f32_e32 v28, 0xbf5db3d7, v12
	s_delay_alu instid0(VALU_DEP_4) | instskip(NEXT) | instid1(VALU_DEP_3)
	v_dual_mul_f32 v33, 0.5, v12 :: v_dual_add_f32 v12, v19, v18
	v_dual_mul_f32 v34, -0.5, v16 :: v_dual_fmac_f32 v31, -0.5, v13
	s_delay_alu instid0(VALU_DEP_3) | instskip(NEXT) | instid1(VALU_DEP_3)
	v_fmac_f32_e32 v28, 0.5, v17
	v_dual_fmac_f32 v33, 0x3f5db3d7, v17 :: v_dual_sub_f32 v18, v19, v18
	s_delay_alu instid0(VALU_DEP_3) | instskip(SKIP_1) | instid1(VALU_DEP_3)
	v_dual_sub_f32 v19, v29, v32 :: v_dual_fmac_f32 v34, 0x3f5db3d7, v13
	v_add_f32_e32 v13, v29, v32
	v_dual_add_f32 v14, v20, v28 :: v_dual_add_f32 v15, v30, v33
	s_delay_alu instid0(VALU_DEP_3)
	v_dual_add_f32 v16, v21, v31 :: v_dual_add_f32 v17, v23, v34
	v_sub_f32_e32 v20, v20, v28
	v_dual_sub_f32 v22, v21, v31 :: v_dual_sub_f32 v23, v23, v34
	v_sub_f32_e32 v21, v30, v33
	ds_store_2addr_b64 v97, v[0:1], v[12:13] offset1:119
	ds_store_2addr_b64 v24, v[2:3], v[14:15] offset0:110 offset1:229
	ds_store_2addr_b64 v25, v[4:5], v[16:17] offset0:92 offset1:211
	;; [unrolled: 1-line block ×5, first 2 shown]
	global_wb scope:SCOPE_SE
	s_wait_dscnt 0x0
	s_barrier_signal -1
	s_barrier_wait -1
	global_inv scope:SCOPE_SE
	s_and_b32 exec_lo, exec_lo, vcc_lo
	s_cbranch_execz .LBB0_23
; %bb.22:
	global_load_b64 v[0:1], v95, s[8:9]
	ds_load_b64 v[2:3], v97
	v_mad_co_u64_u32 v[6:7], null, s4, v96, 0
	s_mov_b32 s0, 0x16f26017
	s_mov_b32 s1, 0x3f46f260
	s_mul_u64 s[2:3], s[4:5], 0x2a0
	s_wait_loadcnt_dscnt 0x0
	v_mul_f32_e32 v4, v3, v1
	v_mul_f32_e32 v1, v2, v1
	s_delay_alu instid0(VALU_DEP_2) | instskip(NEXT) | instid1(VALU_DEP_2)
	v_fmac_f32_e32 v4, v2, v0
	v_fma_f32 v2, v0, v3, -v1
	s_delay_alu instid0(VALU_DEP_2) | instskip(NEXT) | instid1(VALU_DEP_2)
	v_cvt_f64_f32_e32 v[0:1], v4
	v_cvt_f64_f32_e32 v[2:3], v2
	v_mad_co_u64_u32 v[4:5], null, s6, v72, 0
	s_wait_alu 0xfffe
	s_delay_alu instid0(VALU_DEP_3) | instskip(NEXT) | instid1(VALU_DEP_3)
	v_mul_f64_e32 v[0:1], s[0:1], v[0:1]
	v_mul_f64_e32 v[2:3], s[0:1], v[2:3]
	s_delay_alu instid0(VALU_DEP_2) | instskip(NEXT) | instid1(VALU_DEP_2)
	v_cvt_f32_f64_e32 v0, v[0:1]
	v_cvt_f32_f64_e32 v1, v[2:3]
	v_dual_mov_b32 v3, v7 :: v_dual_mov_b32 v2, v5
	s_delay_alu instid0(VALU_DEP_1) | instskip(SKIP_1) | instid1(VALU_DEP_2)
	v_mad_co_u64_u32 v[7:8], null, s7, v72, v[2:3]
	v_mad_co_u64_u32 v[2:3], null, s5, v96, v[3:4]
	v_mov_b32_e32 v5, v7
	s_delay_alu instid0(VALU_DEP_2) | instskip(NEXT) | instid1(VALU_DEP_2)
	v_mov_b32_e32 v7, v2
	v_lshlrev_b64_e32 v[2:3], 3, v[4:5]
	s_delay_alu instid0(VALU_DEP_2) | instskip(NEXT) | instid1(VALU_DEP_2)
	v_lshlrev_b64_e32 v[4:5], 3, v[6:7]
	v_add_co_u32 v2, vcc_lo, s12, v2
	s_delay_alu instid0(VALU_DEP_3) | instskip(NEXT) | instid1(VALU_DEP_2)
	v_add_co_ci_u32_e32 v3, vcc_lo, s13, v3, vcc_lo
	v_add_co_u32 v4, vcc_lo, v2, v4
	s_wait_alu 0xfffd
	s_delay_alu instid0(VALU_DEP_2)
	v_add_co_ci_u32_e32 v5, vcc_lo, v3, v5, vcc_lo
	global_store_b64 v[4:5], v[0:1], off
	global_load_b64 v[6:7], v95, s[8:9] offset:672
	ds_load_2addr_b64 v[0:3], v95 offset0:84 offset1:168
	v_add_co_u32 v4, vcc_lo, v4, s2
	s_wait_alu 0xfffd
	v_add_co_ci_u32_e32 v5, vcc_lo, s3, v5, vcc_lo
	s_wait_loadcnt_dscnt 0x0
	v_mul_f32_e32 v8, v1, v7
	v_mul_f32_e32 v7, v0, v7
	s_delay_alu instid0(VALU_DEP_2) | instskip(NEXT) | instid1(VALU_DEP_2)
	v_fmac_f32_e32 v8, v0, v6
	v_fma_f32 v6, v6, v1, -v7
	s_delay_alu instid0(VALU_DEP_2) | instskip(NEXT) | instid1(VALU_DEP_2)
	v_cvt_f64_f32_e32 v[0:1], v8
	v_cvt_f64_f32_e32 v[6:7], v6
	s_delay_alu instid0(VALU_DEP_2) | instskip(NEXT) | instid1(VALU_DEP_2)
	v_mul_f64_e32 v[0:1], s[0:1], v[0:1]
	v_mul_f64_e32 v[6:7], s[0:1], v[6:7]
	s_delay_alu instid0(VALU_DEP_2) | instskip(NEXT) | instid1(VALU_DEP_2)
	v_cvt_f32_f64_e32 v0, v[0:1]
	v_cvt_f32_f64_e32 v1, v[6:7]
	global_store_b64 v[4:5], v[0:1], off
	global_load_b64 v[0:1], v95, s[8:9] offset:1344
	v_add_co_u32 v4, vcc_lo, v4, s2
	s_wait_alu 0xfffd
	v_add_co_ci_u32_e32 v5, vcc_lo, s3, v5, vcc_lo
	s_wait_loadcnt 0x0
	v_mul_f32_e32 v6, v3, v1
	v_mul_f32_e32 v1, v2, v1
	s_delay_alu instid0(VALU_DEP_2) | instskip(NEXT) | instid1(VALU_DEP_2)
	v_fmac_f32_e32 v6, v2, v0
	v_fma_f32 v2, v0, v3, -v1
	s_delay_alu instid0(VALU_DEP_2) | instskip(NEXT) | instid1(VALU_DEP_2)
	v_cvt_f64_f32_e32 v[0:1], v6
	v_cvt_f64_f32_e32 v[2:3], v2
	s_delay_alu instid0(VALU_DEP_2) | instskip(NEXT) | instid1(VALU_DEP_2)
	v_mul_f64_e32 v[0:1], s[0:1], v[0:1]
	v_mul_f64_e32 v[2:3], s[0:1], v[2:3]
	s_delay_alu instid0(VALU_DEP_2) | instskip(NEXT) | instid1(VALU_DEP_2)
	v_cvt_f32_f64_e32 v0, v[0:1]
	v_cvt_f32_f64_e32 v1, v[2:3]
	global_store_b64 v[4:5], v[0:1], off
	global_load_b64 v[6:7], v95, s[8:9] offset:2016
	v_add_nc_u32_e32 v0, 0x400, v95
	v_add_co_u32 v4, vcc_lo, v4, s2
	s_wait_alu 0xfffd
	v_add_co_ci_u32_e32 v5, vcc_lo, s3, v5, vcc_lo
	ds_load_2addr_b64 v[0:3], v0 offset0:124 offset1:208
	s_wait_loadcnt_dscnt 0x0
	v_mul_f32_e32 v8, v1, v7
	v_mul_f32_e32 v7, v0, v7
	s_delay_alu instid0(VALU_DEP_2) | instskip(NEXT) | instid1(VALU_DEP_2)
	v_fmac_f32_e32 v8, v0, v6
	v_fma_f32 v6, v6, v1, -v7
	s_delay_alu instid0(VALU_DEP_2) | instskip(NEXT) | instid1(VALU_DEP_2)
	v_cvt_f64_f32_e32 v[0:1], v8
	v_cvt_f64_f32_e32 v[6:7], v6
	s_delay_alu instid0(VALU_DEP_2) | instskip(NEXT) | instid1(VALU_DEP_2)
	v_mul_f64_e32 v[0:1], s[0:1], v[0:1]
	v_mul_f64_e32 v[6:7], s[0:1], v[6:7]
	s_delay_alu instid0(VALU_DEP_2) | instskip(NEXT) | instid1(VALU_DEP_2)
	v_cvt_f32_f64_e32 v0, v[0:1]
	v_cvt_f32_f64_e32 v1, v[6:7]
	global_store_b64 v[4:5], v[0:1], off
	global_load_b64 v[0:1], v95, s[8:9] offset:2688
	v_add_co_u32 v4, vcc_lo, v4, s2
	s_wait_alu 0xfffd
	v_add_co_ci_u32_e32 v5, vcc_lo, s3, v5, vcc_lo
	s_wait_loadcnt 0x0
	v_mul_f32_e32 v6, v3, v1
	v_mul_f32_e32 v1, v2, v1
	s_delay_alu instid0(VALU_DEP_2) | instskip(NEXT) | instid1(VALU_DEP_2)
	v_fmac_f32_e32 v6, v2, v0
	v_fma_f32 v2, v0, v3, -v1
	s_delay_alu instid0(VALU_DEP_2) | instskip(NEXT) | instid1(VALU_DEP_2)
	v_cvt_f64_f32_e32 v[0:1], v6
	v_cvt_f64_f32_e32 v[2:3], v2
	s_delay_alu instid0(VALU_DEP_2) | instskip(NEXT) | instid1(VALU_DEP_2)
	v_mul_f64_e32 v[0:1], s[0:1], v[0:1]
	v_mul_f64_e32 v[2:3], s[0:1], v[2:3]
	s_delay_alu instid0(VALU_DEP_2) | instskip(NEXT) | instid1(VALU_DEP_2)
	v_cvt_f32_f64_e32 v0, v[0:1]
	v_cvt_f32_f64_e32 v1, v[2:3]
	global_store_b64 v[4:5], v[0:1], off
	global_load_b64 v[6:7], v95, s[8:9] offset:3360
	v_add_nc_u32_e32 v0, 0x800, v95
	v_add_co_u32 v4, vcc_lo, v4, s2
	s_wait_alu 0xfffd
	v_add_co_ci_u32_e32 v5, vcc_lo, s3, v5, vcc_lo
	ds_load_2addr_b64 v[0:3], v0 offset0:164 offset1:248
	s_wait_loadcnt_dscnt 0x0
	v_mul_f32_e32 v8, v1, v7
	v_mul_f32_e32 v7, v0, v7
	s_delay_alu instid0(VALU_DEP_2) | instskip(NEXT) | instid1(VALU_DEP_2)
	v_fmac_f32_e32 v8, v0, v6
	v_fma_f32 v6, v6, v1, -v7
	s_delay_alu instid0(VALU_DEP_2) | instskip(NEXT) | instid1(VALU_DEP_2)
	v_cvt_f64_f32_e32 v[0:1], v8
	v_cvt_f64_f32_e32 v[6:7], v6
	s_delay_alu instid0(VALU_DEP_2) | instskip(NEXT) | instid1(VALU_DEP_2)
	v_mul_f64_e32 v[0:1], s[0:1], v[0:1]
	v_mul_f64_e32 v[6:7], s[0:1], v[6:7]
	s_delay_alu instid0(VALU_DEP_2) | instskip(NEXT) | instid1(VALU_DEP_2)
	v_cvt_f32_f64_e32 v0, v[0:1]
	v_cvt_f32_f64_e32 v1, v[6:7]
	global_store_b64 v[4:5], v[0:1], off
	global_load_b64 v[0:1], v95, s[8:9] offset:4032
	v_add_co_u32 v4, vcc_lo, v4, s2
	s_wait_alu 0xfffd
	v_add_co_ci_u32_e32 v5, vcc_lo, s3, v5, vcc_lo
	s_wait_loadcnt 0x0
	v_mul_f32_e32 v6, v3, v1
	v_mul_f32_e32 v1, v2, v1
	s_delay_alu instid0(VALU_DEP_2) | instskip(NEXT) | instid1(VALU_DEP_2)
	v_fmac_f32_e32 v6, v2, v0
	v_fma_f32 v2, v0, v3, -v1
	s_delay_alu instid0(VALU_DEP_2) | instskip(NEXT) | instid1(VALU_DEP_2)
	v_cvt_f64_f32_e32 v[0:1], v6
	v_cvt_f64_f32_e32 v[2:3], v2
	s_delay_alu instid0(VALU_DEP_2) | instskip(NEXT) | instid1(VALU_DEP_2)
	v_mul_f64_e32 v[0:1], s[0:1], v[0:1]
	v_mul_f64_e32 v[2:3], s[0:1], v[2:3]
	s_delay_alu instid0(VALU_DEP_2) | instskip(NEXT) | instid1(VALU_DEP_2)
	v_cvt_f32_f64_e32 v0, v[0:1]
	v_cvt_f32_f64_e32 v1, v[2:3]
	global_store_b64 v[4:5], v[0:1], off
	global_load_b64 v[6:7], v95, s[8:9] offset:4704
	v_add_nc_u32_e32 v0, 0x1000, v95
	v_add_co_u32 v4, vcc_lo, v4, s2
	s_wait_alu 0xfffd
	v_add_co_ci_u32_e32 v5, vcc_lo, s3, v5, vcc_lo
	ds_load_2addr_b64 v[0:3], v0 offset0:76 offset1:160
	s_wait_loadcnt_dscnt 0x0
	v_mul_f32_e32 v8, v1, v7
	v_mul_f32_e32 v7, v0, v7
	s_delay_alu instid0(VALU_DEP_2) | instskip(NEXT) | instid1(VALU_DEP_2)
	v_fmac_f32_e32 v8, v0, v6
	v_fma_f32 v6, v6, v1, -v7
	s_delay_alu instid0(VALU_DEP_2) | instskip(NEXT) | instid1(VALU_DEP_2)
	v_cvt_f64_f32_e32 v[0:1], v8
	v_cvt_f64_f32_e32 v[6:7], v6
	s_delay_alu instid0(VALU_DEP_2) | instskip(NEXT) | instid1(VALU_DEP_2)
	v_mul_f64_e32 v[0:1], s[0:1], v[0:1]
	v_mul_f64_e32 v[6:7], s[0:1], v[6:7]
	s_delay_alu instid0(VALU_DEP_2) | instskip(NEXT) | instid1(VALU_DEP_2)
	v_cvt_f32_f64_e32 v0, v[0:1]
	v_cvt_f32_f64_e32 v1, v[6:7]
	global_store_b64 v[4:5], v[0:1], off
	global_load_b64 v[0:1], v95, s[8:9] offset:5376
	v_add_co_u32 v4, vcc_lo, v4, s2
	s_wait_alu 0xfffd
	v_add_co_ci_u32_e32 v5, vcc_lo, s3, v5, vcc_lo
	s_wait_loadcnt 0x0
	v_mul_f32_e32 v6, v3, v1
	v_mul_f32_e32 v1, v2, v1
	s_delay_alu instid0(VALU_DEP_2) | instskip(NEXT) | instid1(VALU_DEP_2)
	v_fmac_f32_e32 v6, v2, v0
	v_fma_f32 v2, v0, v3, -v1
	s_delay_alu instid0(VALU_DEP_2) | instskip(NEXT) | instid1(VALU_DEP_2)
	v_cvt_f64_f32_e32 v[0:1], v6
	v_cvt_f64_f32_e32 v[2:3], v2
	s_delay_alu instid0(VALU_DEP_2) | instskip(NEXT) | instid1(VALU_DEP_2)
	v_mul_f64_e32 v[0:1], s[0:1], v[0:1]
	v_mul_f64_e32 v[2:3], s[0:1], v[2:3]
	s_delay_alu instid0(VALU_DEP_2) | instskip(NEXT) | instid1(VALU_DEP_2)
	v_cvt_f32_f64_e32 v0, v[0:1]
	v_cvt_f32_f64_e32 v1, v[2:3]
	global_store_b64 v[4:5], v[0:1], off
	global_load_b64 v[6:7], v95, s[8:9] offset:6048
	v_add_nc_u32_e32 v0, 0x1400, v95
	v_add_co_u32 v4, vcc_lo, v4, s2
	s_wait_alu 0xfffd
	v_add_co_ci_u32_e32 v5, vcc_lo, s3, v5, vcc_lo
	ds_load_2addr_b64 v[0:3], v0 offset0:116 offset1:200
	s_wait_loadcnt_dscnt 0x0
	v_mul_f32_e32 v8, v1, v7
	v_mul_f32_e32 v7, v0, v7
	s_delay_alu instid0(VALU_DEP_2) | instskip(NEXT) | instid1(VALU_DEP_2)
	v_fmac_f32_e32 v8, v0, v6
	v_fma_f32 v6, v6, v1, -v7
	s_delay_alu instid0(VALU_DEP_2) | instskip(NEXT) | instid1(VALU_DEP_2)
	v_cvt_f64_f32_e32 v[0:1], v8
	v_cvt_f64_f32_e32 v[6:7], v6
	s_delay_alu instid0(VALU_DEP_2) | instskip(NEXT) | instid1(VALU_DEP_2)
	v_mul_f64_e32 v[0:1], s[0:1], v[0:1]
	v_mul_f64_e32 v[6:7], s[0:1], v[6:7]
	s_delay_alu instid0(VALU_DEP_2) | instskip(NEXT) | instid1(VALU_DEP_2)
	v_cvt_f32_f64_e32 v0, v[0:1]
	v_cvt_f32_f64_e32 v1, v[6:7]
	global_store_b64 v[4:5], v[0:1], off
	global_load_b64 v[0:1], v95, s[8:9] offset:6720
	v_add_co_u32 v4, vcc_lo, v4, s2
	s_wait_alu 0xfffd
	v_add_co_ci_u32_e32 v5, vcc_lo, s3, v5, vcc_lo
	s_wait_loadcnt 0x0
	v_mul_f32_e32 v6, v3, v1
	v_mul_f32_e32 v1, v2, v1
	s_delay_alu instid0(VALU_DEP_2) | instskip(NEXT) | instid1(VALU_DEP_2)
	v_fmac_f32_e32 v6, v2, v0
	v_fma_f32 v2, v0, v3, -v1
	s_delay_alu instid0(VALU_DEP_2) | instskip(NEXT) | instid1(VALU_DEP_2)
	v_cvt_f64_f32_e32 v[0:1], v6
	v_cvt_f64_f32_e32 v[2:3], v2
	s_delay_alu instid0(VALU_DEP_2) | instskip(NEXT) | instid1(VALU_DEP_2)
	v_mul_f64_e32 v[0:1], s[0:1], v[0:1]
	v_mul_f64_e32 v[2:3], s[0:1], v[2:3]
	s_delay_alu instid0(VALU_DEP_2) | instskip(NEXT) | instid1(VALU_DEP_2)
	v_cvt_f32_f64_e32 v0, v[0:1]
	v_cvt_f32_f64_e32 v1, v[2:3]
	global_store_b64 v[4:5], v[0:1], off
	global_load_b64 v[6:7], v95, s[8:9] offset:7392
	v_add_nc_u32_e32 v0, 0x1800, v95
	v_add_co_u32 v4, vcc_lo, v4, s2
	s_wait_alu 0xfffd
	v_add_co_ci_u32_e32 v5, vcc_lo, s3, v5, vcc_lo
	ds_load_2addr_b64 v[0:3], v0 offset0:156 offset1:240
	s_wait_loadcnt_dscnt 0x0
	v_mul_f32_e32 v8, v1, v7
	v_mul_f32_e32 v7, v0, v7
	s_delay_alu instid0(VALU_DEP_2) | instskip(NEXT) | instid1(VALU_DEP_2)
	v_fmac_f32_e32 v8, v0, v6
	v_fma_f32 v6, v6, v1, -v7
	s_delay_alu instid0(VALU_DEP_2) | instskip(NEXT) | instid1(VALU_DEP_2)
	v_cvt_f64_f32_e32 v[0:1], v8
	v_cvt_f64_f32_e32 v[6:7], v6
	s_delay_alu instid0(VALU_DEP_2) | instskip(NEXT) | instid1(VALU_DEP_2)
	v_mul_f64_e32 v[0:1], s[0:1], v[0:1]
	v_mul_f64_e32 v[6:7], s[0:1], v[6:7]
	s_delay_alu instid0(VALU_DEP_2) | instskip(NEXT) | instid1(VALU_DEP_2)
	v_cvt_f32_f64_e32 v0, v[0:1]
	v_cvt_f32_f64_e32 v1, v[6:7]
	global_store_b64 v[4:5], v[0:1], off
	global_load_b64 v[0:1], v95, s[8:9] offset:8064
	v_add_co_u32 v4, vcc_lo, v4, s2
	s_wait_alu 0xfffd
	v_add_co_ci_u32_e32 v5, vcc_lo, s3, v5, vcc_lo
	s_wait_loadcnt 0x0
	v_mul_f32_e32 v6, v3, v1
	v_mul_f32_e32 v1, v2, v1
	s_delay_alu instid0(VALU_DEP_2) | instskip(NEXT) | instid1(VALU_DEP_2)
	v_fmac_f32_e32 v6, v2, v0
	v_fma_f32 v2, v0, v3, -v1
	s_delay_alu instid0(VALU_DEP_2) | instskip(NEXT) | instid1(VALU_DEP_2)
	v_cvt_f64_f32_e32 v[0:1], v6
	v_cvt_f64_f32_e32 v[2:3], v2
	s_delay_alu instid0(VALU_DEP_2) | instskip(NEXT) | instid1(VALU_DEP_2)
	v_mul_f64_e32 v[0:1], s[0:1], v[0:1]
	v_mul_f64_e32 v[2:3], s[0:1], v[2:3]
	s_delay_alu instid0(VALU_DEP_2) | instskip(NEXT) | instid1(VALU_DEP_2)
	v_cvt_f32_f64_e32 v0, v[0:1]
	v_cvt_f32_f64_e32 v1, v[2:3]
	global_store_b64 v[4:5], v[0:1], off
	global_load_b64 v[6:7], v95, s[8:9] offset:8736
	v_add_nc_u32_e32 v0, 0x2000, v95
	v_add_co_u32 v4, vcc_lo, v4, s2
	s_wait_alu 0xfffd
	v_add_co_ci_u32_e32 v5, vcc_lo, s3, v5, vcc_lo
	ds_load_2addr_b64 v[0:3], v0 offset0:68 offset1:152
	s_wait_loadcnt_dscnt 0x0
	v_mul_f32_e32 v8, v1, v7
	v_mul_f32_e32 v7, v0, v7
	s_delay_alu instid0(VALU_DEP_2) | instskip(NEXT) | instid1(VALU_DEP_2)
	v_fmac_f32_e32 v8, v0, v6
	v_fma_f32 v6, v6, v1, -v7
	s_delay_alu instid0(VALU_DEP_2) | instskip(NEXT) | instid1(VALU_DEP_2)
	v_cvt_f64_f32_e32 v[0:1], v8
	v_cvt_f64_f32_e32 v[6:7], v6
	s_delay_alu instid0(VALU_DEP_2) | instskip(NEXT) | instid1(VALU_DEP_2)
	v_mul_f64_e32 v[0:1], s[0:1], v[0:1]
	v_mul_f64_e32 v[6:7], s[0:1], v[6:7]
	s_delay_alu instid0(VALU_DEP_2) | instskip(NEXT) | instid1(VALU_DEP_2)
	v_cvt_f32_f64_e32 v0, v[0:1]
	v_cvt_f32_f64_e32 v1, v[6:7]
	global_store_b64 v[4:5], v[0:1], off
	global_load_b64 v[0:1], v95, s[8:9] offset:9408
	v_add_co_u32 v4, vcc_lo, v4, s2
	s_wait_alu 0xfffd
	v_add_co_ci_u32_e32 v5, vcc_lo, s3, v5, vcc_lo
	s_wait_loadcnt 0x0
	v_mul_f32_e32 v6, v3, v1
	v_mul_f32_e32 v1, v2, v1
	s_delay_alu instid0(VALU_DEP_2) | instskip(NEXT) | instid1(VALU_DEP_2)
	v_fmac_f32_e32 v6, v2, v0
	v_fma_f32 v2, v0, v3, -v1
	s_delay_alu instid0(VALU_DEP_2) | instskip(NEXT) | instid1(VALU_DEP_2)
	v_cvt_f64_f32_e32 v[0:1], v6
	v_cvt_f64_f32_e32 v[2:3], v2
	s_delay_alu instid0(VALU_DEP_2) | instskip(NEXT) | instid1(VALU_DEP_2)
	v_mul_f64_e32 v[0:1], s[0:1], v[0:1]
	v_mul_f64_e32 v[2:3], s[0:1], v[2:3]
	s_delay_alu instid0(VALU_DEP_2) | instskip(NEXT) | instid1(VALU_DEP_2)
	v_cvt_f32_f64_e32 v0, v[0:1]
	v_cvt_f32_f64_e32 v1, v[2:3]
	global_store_b64 v[4:5], v[0:1], off
	global_load_b64 v[6:7], v95, s[8:9] offset:10080
	v_add_nc_u32_e32 v0, 0x2400, v95
	v_add_co_u32 v4, vcc_lo, v4, s2
	s_wait_alu 0xfffd
	v_add_co_ci_u32_e32 v5, vcc_lo, s3, v5, vcc_lo
	ds_load_2addr_b64 v[0:3], v0 offset0:108 offset1:192
	s_wait_loadcnt_dscnt 0x0
	v_mul_f32_e32 v8, v1, v7
	v_mul_f32_e32 v7, v0, v7
	s_delay_alu instid0(VALU_DEP_2) | instskip(NEXT) | instid1(VALU_DEP_2)
	v_fmac_f32_e32 v8, v0, v6
	v_fma_f32 v6, v6, v1, -v7
	s_delay_alu instid0(VALU_DEP_2) | instskip(NEXT) | instid1(VALU_DEP_2)
	v_cvt_f64_f32_e32 v[0:1], v8
	v_cvt_f64_f32_e32 v[6:7], v6
	s_delay_alu instid0(VALU_DEP_2) | instskip(NEXT) | instid1(VALU_DEP_2)
	v_mul_f64_e32 v[0:1], s[0:1], v[0:1]
	v_mul_f64_e32 v[6:7], s[0:1], v[6:7]
	s_delay_alu instid0(VALU_DEP_2) | instskip(NEXT) | instid1(VALU_DEP_2)
	v_cvt_f32_f64_e32 v0, v[0:1]
	v_cvt_f32_f64_e32 v1, v[6:7]
	global_store_b64 v[4:5], v[0:1], off
	global_load_b64 v[0:1], v95, s[8:9] offset:10752
	s_wait_loadcnt 0x0
	v_mul_f32_e32 v6, v3, v1
	v_mul_f32_e32 v1, v2, v1
	s_delay_alu instid0(VALU_DEP_2) | instskip(NEXT) | instid1(VALU_DEP_2)
	v_fmac_f32_e32 v6, v2, v0
	v_fma_f32 v2, v0, v3, -v1
	s_delay_alu instid0(VALU_DEP_2) | instskip(NEXT) | instid1(VALU_DEP_2)
	v_cvt_f64_f32_e32 v[0:1], v6
	v_cvt_f64_f32_e32 v[2:3], v2
	s_delay_alu instid0(VALU_DEP_2) | instskip(NEXT) | instid1(VALU_DEP_2)
	v_mul_f64_e32 v[0:1], s[0:1], v[0:1]
	v_mul_f64_e32 v[2:3], s[0:1], v[2:3]
	s_delay_alu instid0(VALU_DEP_2) | instskip(NEXT) | instid1(VALU_DEP_2)
	v_cvt_f32_f64_e32 v0, v[0:1]
	v_cvt_f32_f64_e32 v1, v[2:3]
	v_add_co_u32 v2, vcc_lo, v4, s2
	s_wait_alu 0xfffd
	v_add_co_ci_u32_e32 v3, vcc_lo, s3, v5, vcc_lo
	global_store_b64 v[2:3], v[0:1], off
.LBB0_23:
	s_nop 0
	s_sendmsg sendmsg(MSG_DEALLOC_VGPRS)
	s_endpgm
	.section	.rodata,"a",@progbits
	.p2align	6, 0x0
	.amdhsa_kernel bluestein_single_back_len1428_dim1_sp_op_CI_CI
		.amdhsa_group_segment_fixed_size 11424
		.amdhsa_private_segment_fixed_size 0
		.amdhsa_kernarg_size 104
		.amdhsa_user_sgpr_count 2
		.amdhsa_user_sgpr_dispatch_ptr 0
		.amdhsa_user_sgpr_queue_ptr 0
		.amdhsa_user_sgpr_kernarg_segment_ptr 1
		.amdhsa_user_sgpr_dispatch_id 0
		.amdhsa_user_sgpr_private_segment_size 0
		.amdhsa_wavefront_size32 1
		.amdhsa_uses_dynamic_stack 0
		.amdhsa_enable_private_segment 0
		.amdhsa_system_sgpr_workgroup_id_x 1
		.amdhsa_system_sgpr_workgroup_id_y 0
		.amdhsa_system_sgpr_workgroup_id_z 0
		.amdhsa_system_sgpr_workgroup_info 0
		.amdhsa_system_vgpr_workitem_id 0
		.amdhsa_next_free_vgpr 208
		.amdhsa_next_free_sgpr 14
		.amdhsa_reserve_vcc 1
		.amdhsa_float_round_mode_32 0
		.amdhsa_float_round_mode_16_64 0
		.amdhsa_float_denorm_mode_32 3
		.amdhsa_float_denorm_mode_16_64 3
		.amdhsa_fp16_overflow 0
		.amdhsa_workgroup_processor_mode 1
		.amdhsa_memory_ordered 1
		.amdhsa_forward_progress 0
		.amdhsa_round_robin_scheduling 0
		.amdhsa_exception_fp_ieee_invalid_op 0
		.amdhsa_exception_fp_denorm_src 0
		.amdhsa_exception_fp_ieee_div_zero 0
		.amdhsa_exception_fp_ieee_overflow 0
		.amdhsa_exception_fp_ieee_underflow 0
		.amdhsa_exception_fp_ieee_inexact 0
		.amdhsa_exception_int_div_zero 0
	.end_amdhsa_kernel
	.text
.Lfunc_end0:
	.size	bluestein_single_back_len1428_dim1_sp_op_CI_CI, .Lfunc_end0-bluestein_single_back_len1428_dim1_sp_op_CI_CI
                                        ; -- End function
	.section	.AMDGPU.csdata,"",@progbits
; Kernel info:
; codeLenInByte = 22784
; NumSgprs: 16
; NumVgprs: 208
; ScratchSize: 0
; MemoryBound: 0
; FloatMode: 240
; IeeeMode: 1
; LDSByteSize: 11424 bytes/workgroup (compile time only)
; SGPRBlocks: 1
; VGPRBlocks: 25
; NumSGPRsForWavesPerEU: 16
; NumVGPRsForWavesPerEU: 208
; Occupancy: 7
; WaveLimiterHint : 1
; COMPUTE_PGM_RSRC2:SCRATCH_EN: 0
; COMPUTE_PGM_RSRC2:USER_SGPR: 2
; COMPUTE_PGM_RSRC2:TRAP_HANDLER: 0
; COMPUTE_PGM_RSRC2:TGID_X_EN: 1
; COMPUTE_PGM_RSRC2:TGID_Y_EN: 0
; COMPUTE_PGM_RSRC2:TGID_Z_EN: 0
; COMPUTE_PGM_RSRC2:TIDIG_COMP_CNT: 0
	.text
	.p2alignl 7, 3214868480
	.fill 96, 4, 3214868480
	.type	__hip_cuid_e88f7fdd8fc37684,@object ; @__hip_cuid_e88f7fdd8fc37684
	.section	.bss,"aw",@nobits
	.globl	__hip_cuid_e88f7fdd8fc37684
__hip_cuid_e88f7fdd8fc37684:
	.byte	0                               ; 0x0
	.size	__hip_cuid_e88f7fdd8fc37684, 1

	.ident	"AMD clang version 19.0.0git (https://github.com/RadeonOpenCompute/llvm-project roc-6.4.0 25133 c7fe45cf4b819c5991fe208aaa96edf142730f1d)"
	.section	".note.GNU-stack","",@progbits
	.addrsig
	.addrsig_sym __hip_cuid_e88f7fdd8fc37684
	.amdgpu_metadata
---
amdhsa.kernels:
  - .args:
      - .actual_access:  read_only
        .address_space:  global
        .offset:         0
        .size:           8
        .value_kind:     global_buffer
      - .actual_access:  read_only
        .address_space:  global
        .offset:         8
        .size:           8
        .value_kind:     global_buffer
      - .actual_access:  read_only
        .address_space:  global
        .offset:         16
        .size:           8
        .value_kind:     global_buffer
      - .actual_access:  read_only
        .address_space:  global
        .offset:         24
        .size:           8
        .value_kind:     global_buffer
      - .actual_access:  read_only
        .address_space:  global
        .offset:         32
        .size:           8
        .value_kind:     global_buffer
      - .offset:         40
        .size:           8
        .value_kind:     by_value
      - .address_space:  global
        .offset:         48
        .size:           8
        .value_kind:     global_buffer
      - .address_space:  global
        .offset:         56
        .size:           8
        .value_kind:     global_buffer
      - .address_space:  global
        .offset:         64
        .size:           8
        .value_kind:     global_buffer
      - .address_space:  global
        .offset:         72
        .size:           8
        .value_kind:     global_buffer
      - .offset:         80
        .size:           4
        .value_kind:     by_value
      - .address_space:  global
        .offset:         88
        .size:           8
        .value_kind:     global_buffer
      - .address_space:  global
        .offset:         96
        .size:           8
        .value_kind:     global_buffer
    .group_segment_fixed_size: 11424
    .kernarg_segment_align: 8
    .kernarg_segment_size: 104
    .language:       OpenCL C
    .language_version:
      - 2
      - 0
    .max_flat_workgroup_size: 119
    .name:           bluestein_single_back_len1428_dim1_sp_op_CI_CI
    .private_segment_fixed_size: 0
    .sgpr_count:     16
    .sgpr_spill_count: 0
    .symbol:         bluestein_single_back_len1428_dim1_sp_op_CI_CI.kd
    .uniform_work_group_size: 1
    .uses_dynamic_stack: false
    .vgpr_count:     208
    .vgpr_spill_count: 0
    .wavefront_size: 32
    .workgroup_processor_mode: 1
amdhsa.target:   amdgcn-amd-amdhsa--gfx1201
amdhsa.version:
  - 1
  - 2
...

	.end_amdgpu_metadata
